;; amdgpu-corpus repo=ggml-org/llama.cpp kind=compiled arch=gfx1100 opt=O3
	.text
	.amdgcn_target "amdgcn-amd-amdhsa--gfx1100"
	.amdhsa_code_object_version 6
	.section	.text._ZL15flash_attn_tileILi320ELi256ELi1ELi32ELb0EEvPKcS1_S1_S1_S1_PKiPfP15HIP_vector_typeIfLj2EEffffjfiS5_IjLj3EEiiiiiiiiiiiliiliiiiil,"axG",@progbits,_ZL15flash_attn_tileILi320ELi256ELi1ELi32ELb0EEvPKcS1_S1_S1_S1_PKiPfP15HIP_vector_typeIfLj2EEffffjfiS5_IjLj3EEiiiiiiiiiiiliiliiiiil,comdat
	.globl	_ZL15flash_attn_tileILi320ELi256ELi1ELi32ELb0EEvPKcS1_S1_S1_S1_PKiPfP15HIP_vector_typeIfLj2EEffffjfiS5_IjLj3EEiiiiiiiiiiiliiliiiiil ; -- Begin function _ZL15flash_attn_tileILi320ELi256ELi1ELi32ELb0EEvPKcS1_S1_S1_S1_PKiPfP15HIP_vector_typeIfLj2EEffffjfiS5_IjLj3EEiiiiiiiiiiiliiliiiiil
	.p2align	8
	.type	_ZL15flash_attn_tileILi320ELi256ELi1ELi32ELb0EEvPKcS1_S1_S1_S1_PKiPfP15HIP_vector_typeIfLj2EEffffjfiS5_IjLj3EEiiiiiiiiiiiliiliiiiil,@function
_ZL15flash_attn_tileILi320ELi256ELi1ELi32ELb0EEvPKcS1_S1_S1_S1_PKiPfP15HIP_vector_typeIfLj2EEffffjfiS5_IjLj3EEiiiiiiiiiiiliiliiiiil: ; @_ZL15flash_attn_tileILi320ELi256ELi1ELi32ELb0EEvPKcS1_S1_S1_S1_PKiPfP15HIP_vector_typeIfLj2EEffffjfiS5_IjLj3EEiiiiiiiiiiiliiliiiiil
; %bb.0:
	s_clause 0x1
	s_load_b128 s[8:11], s[0:1], 0x5c
	s_load_b64 s[34:35], s[0:1], 0x80
	s_mov_b64 s[36:37], 0
	s_waitcnt lgkmcnt(0)
	s_ashr_i32 s2, s11, 31
	s_delay_alu instid0(SALU_CYCLE_1) | instskip(NEXT) | instid1(SALU_CYCLE_1)
	s_lshr_b32 s2, s2, 27
	s_add_i32 s2, s11, s2
	s_delay_alu instid0(SALU_CYCLE_1) | instskip(NEXT) | instid1(SALU_CYCLE_1)
	s_ashr_i32 s2, s2, 5
	v_cvt_f32_u32_e32 v1, s2
	s_sub_i32 s4, 0, s2
	s_delay_alu instid0(VALU_DEP_1) | instskip(SKIP_2) | instid1(VALU_DEP_1)
	v_rcp_iflag_f32_e32 v1, v1
	s_waitcnt_depctr 0xfff
	v_mul_f32_e32 v1, 0x4f7ffffe, v1
	v_cvt_u32_f32_e32 v1, v1
	s_delay_alu instid0(VALU_DEP_1) | instskip(NEXT) | instid1(VALU_DEP_1)
	v_readfirstlane_b32 s3, v1
	s_mul_i32 s4, s4, s3
	s_delay_alu instid0(SALU_CYCLE_1) | instskip(NEXT) | instid1(SALU_CYCLE_1)
	s_mul_hi_u32 s4, s3, s4
	s_add_i32 s3, s3, s4
	s_delay_alu instid0(SALU_CYCLE_1) | instskip(NEXT) | instid1(SALU_CYCLE_1)
	s_mul_hi_u32 s3, s15, s3
	s_mul_i32 s4, s3, s2
	s_add_i32 s5, s3, 1
	s_sub_i32 s4, s15, s4
	s_delay_alu instid0(SALU_CYCLE_1)
	s_sub_i32 s6, s4, s2
	s_cmp_ge_u32 s4, s2
	s_cselect_b32 s3, s5, s3
	s_cselect_b32 s4, s6, s4
	s_add_i32 s5, s3, 1
	s_cmp_ge_u32 s4, s2
	s_cselect_b32 s33, s5, s3
	s_abs_i32 s2, s35
	s_abs_i32 s7, s11
	v_cvt_f32_u32_e32 v1, s2
	s_sub_i32 s4, 0, s2
	s_lshl_b32 s5, s15, 5
	s_mul_i32 s6, s33, s11
	s_delay_alu instid0(VALU_DEP_1) | instskip(SKIP_3) | instid1(VALU_DEP_1)
	v_rcp_iflag_f32_e32 v1, v1
	s_sub_i32 s15, s5, s6
	s_waitcnt_depctr 0xfff
	v_mul_f32_e32 v1, 0x4f7ffffe, v1
	v_cvt_u32_f32_e32 v1, v1
	s_delay_alu instid0(VALU_DEP_1) | instskip(NEXT) | instid1(VALU_DEP_1)
	v_readfirstlane_b32 s3, v1
	s_mul_i32 s4, s4, s3
	s_delay_alu instid0(SALU_CYCLE_1) | instskip(NEXT) | instid1(SALU_CYCLE_1)
	s_mul_hi_u32 s4, s3, s4
	s_add_i32 s3, s3, s4
	s_xor_b32 s4, s11, s35
	s_mul_hi_u32 s3, s7, s3
	s_ashr_i32 s4, s4, 31
	s_mul_i32 s5, s3, s2
	s_add_i32 s6, s3, 1
	s_sub_i32 s5, s7, s5
	s_delay_alu instid0(SALU_CYCLE_1)
	s_sub_i32 s7, s5, s2
	s_cmp_ge_u32 s5, s2
	s_cselect_b32 s3, s6, s3
	s_cselect_b32 s5, s7, s5
	s_add_i32 s6, s3, 1
	s_cmp_ge_u32 s5, s2
	s_cselect_b32 s2, s6, s3
	s_delay_alu instid0(SALU_CYCLE_1) | instskip(NEXT) | instid1(SALU_CYCLE_1)
	s_xor_b32 s2, s2, s4
	s_sub_i32 s35, s2, s4
	s_clause 0x1
	s_load_b512 s[16:31], s[0:1], 0x0
	s_load_b64 s[2:3], s[0:1], 0xb8
	s_abs_i32 s12, s35
	s_delay_alu instid0(SALU_CYCLE_1) | instskip(NEXT) | instid1(VALU_DEP_1)
	v_cvt_f32_u32_e32 v1, s12
	v_rcp_iflag_f32_e32 v1, v1
	s_waitcnt_depctr 0xfff
	v_mul_f32_e32 v1, 0x4f7ffffe, v1
	s_waitcnt lgkmcnt(0)
	s_cmp_eq_u64 s[22:23], 0
	s_delay_alu instid0(VALU_DEP_1) | instskip(NEXT) | instid1(VALU_DEP_1)
	v_cvt_u32_f32_e32 v1, v1
	v_readfirstlane_b32 s38, v1
	s_cbranch_scc1 .LBB0_2
; %bb.1:
	s_abs_i32 s2, s2
	s_abs_i32 s6, s33
	v_cvt_f32_u32_e32 v1, s2
	s_sub_i32 s5, 0, s2
	s_delay_alu instid0(VALU_DEP_1) | instskip(SKIP_2) | instid1(VALU_DEP_1)
	v_rcp_iflag_f32_e32 v1, v1
	s_waitcnt_depctr 0xfff
	v_mul_f32_e32 v1, 0x4f7ffffe, v1
	v_cvt_u32_f32_e32 v1, v1
	s_delay_alu instid0(VALU_DEP_1) | instskip(NEXT) | instid1(VALU_DEP_1)
	v_readfirstlane_b32 s4, v1
	s_mul_i32 s5, s5, s4
	s_delay_alu instid0(SALU_CYCLE_1) | instskip(NEXT) | instid1(SALU_CYCLE_1)
	s_mul_hi_u32 s5, s4, s5
	s_add_i32 s7, s4, s5
	s_load_b64 s[4:5], s[0:1], 0xc8
	s_mul_hi_u32 s7, s6, s7
	s_delay_alu instid0(SALU_CYCLE_1) | instskip(NEXT) | instid1(SALU_CYCLE_1)
	s_mul_i32 s7, s7, s2
	s_sub_i32 s6, s6, s7
	s_ashr_i32 s7, s33, 31
	s_sub_i32 s36, s6, s2
	s_cmp_ge_u32 s6, s2
	s_cselect_b32 s6, s36, s6
	s_delay_alu instid0(SALU_CYCLE_1) | instskip(SKIP_2) | instid1(SALU_CYCLE_1)
	s_sub_i32 s36, s6, s2
	s_cmp_ge_u32 s6, s2
	s_cselect_b32 s2, s36, s6
	s_xor_b32 s2, s2, s7
	s_delay_alu instid0(SALU_CYCLE_1)
	s_sub_i32 s2, s2, s7
	s_waitcnt lgkmcnt(0)
	s_mul_i32 s5, s2, s5
	s_mul_hi_u32 s6, s2, s4
	s_ashr_i32 s7, s2, 31
	s_add_i32 s5, s6, s5
	s_mul_i32 s7, s7, s4
	s_mul_i32 s2, s2, s4
	s_add_i32 s5, s5, s7
	s_add_u32 s36, s22, s2
	s_addc_u32 s37, s23, s5
.LBB0_2:
	v_bfe_u32 v4, v0, 10, 10
	s_load_b128 s[4:7], s[0:1], 0x70
	v_and_b32_e32 v13, 0x3ff, v0
	s_delay_alu instid0(VALU_DEP_2) | instskip(SKIP_2) | instid1(VALU_DEP_3)
	v_lshrrev_b32_e32 v1, 3, v4
	v_lshlrev_b32_e32 v6, 2, v4
	v_mul_u32_u24_e32 v22, 0x280, v4
	v_add_nc_u32_e32 v12, s13, v1
	s_delay_alu instid0(VALU_DEP_3) | instskip(NEXT) | instid1(VALU_DEP_2)
	v_and_b32_e32 v32, 28, v6
	v_mul_hi_u32 v1, s8, v12
	s_waitcnt lgkmcnt(0)
	s_mul_i32 s2, s33, s6
	s_mul_i32 s6, s15, s5
	s_delay_alu instid0(VALU_DEP_1)
	v_add_nc_u32_e32 v1, v12, v1
	s_ashr_i32 s7, s2, 31
	s_add_u32 s2, s16, s2
	s_addc_u32 s7, s17, s7
	s_ashr_i32 s8, s6, 31
	v_lshrrev_b32_e32 v1, s9, v1
	s_add_u32 s2, s2, s6
	s_addc_u32 s6, s7, s8
	s_ashr_i32 s7, s4, 31
	s_ashr_i32 s9, s5, 31
	v_mul_lo_u32 v1, v1, s10
	v_alignbit_b32 v3, s7, s4, 2
	s_lshr_b32 s4, s7, 2
	s_mov_b32 s8, s5
	s_delay_alu instid0(VALU_DEP_2) | instskip(NEXT) | instid1(VALU_DEP_1)
	v_sub_nc_u32_e32 v5, v12, v1
	v_mad_u64_u32 v[1:2], null, v3, v5, 0
	v_alignbit_b32 v3, s9, s5, 2
	s_delay_alu instid0(VALU_DEP_1) | instskip(NEXT) | instid1(VALU_DEP_3)
	v_mad_u64_u32 v[7:8], null, v3, v32, 0
	v_mad_u64_u32 v[9:10], null, s4, v5, v[2:3]
	s_lshr_b32 s4, s9, 2
	s_delay_alu instid0(VALU_DEP_1) | instskip(NEXT) | instid1(VALU_DEP_1)
	v_dual_mov_b32 v3, v8 :: v_dual_mov_b32 v2, v9
	v_mad_u64_u32 v[8:9], null, s4, v32, v[3:4]
	s_delay_alu instid0(VALU_DEP_2) | instskip(SKIP_2) | instid1(VALU_DEP_2)
	v_lshlrev_b64 v[0:1], 2, v[1:2]
	v_lshlrev_b32_e32 v2, 4, v13
	s_lshr_b64 s[4:5], s[8:9], 2
	v_add_co_u32 v3, vcc_lo, s2, v0
	s_delay_alu instid0(VALU_DEP_3) | instskip(SKIP_1) | instid1(VALU_DEP_3)
	v_add_co_ci_u32_e32 v9, vcc_lo, s6, v1, vcc_lo
	v_lshlrev_b64 v[0:1], 2, v[7:8]
	v_add_co_u32 v2, vcc_lo, v3, v2
	s_delay_alu instid0(VALU_DEP_3) | instskip(SKIP_1) | instid1(VALU_DEP_2)
	v_add_co_ci_u32_e32 v3, vcc_lo, 0, v9, vcc_lo
	s_load_b32 s6, s[0:1], 0x40
	v_add_co_u32 v0, vcc_lo, v2, v0
	s_delay_alu instid0(VALU_DEP_2)
	v_add_co_ci_u32_e32 v1, vcc_lo, v3, v1, vcc_lo
	v_lshlrev_b32_e32 v7, 1, v13
	v_cmp_gt_u32_e32 vcc_lo, 16, v13
	s_clause 0x1
	global_load_b128 v[8:11], v[0:1], off
	global_load_b128 v[14:17], v[0:1], off offset:512
	s_waitcnt vmcnt(1) lgkmcnt(0)
	v_fma_mixlo_f16 v19, v10, s6, 0
	v_fma_mixlo_f16 v18, v8, s6, 0
	s_waitcnt vmcnt(0)
	v_fma_mixlo_f16 v21, v16, s6, 0
	v_fma_mixlo_f16 v20, v14, s6, 0
	v_add_lshl_u32 v8, v22, v7, 2
	v_fma_mixhi_f16 v19, v11, s6, 0
	v_fma_mixhi_f16 v18, v9, s6, 0
	;; [unrolled: 1-line block ×4, first 2 shown]
	ds_store_2addr_b64 v8, v[18:19], v[20:21] offset1:32
	s_and_saveexec_b32 s2, vcc_lo
	s_cbranch_execz .LBB0_4
; %bb.3:
	global_load_b128 v[14:17], v[0:1], off offset:1024
	s_waitcnt vmcnt(0)
	v_fma_mixlo_f16 v1, v16, s6, 0
	v_fma_mixlo_f16 v0, v14, s6, 0
	s_delay_alu instid0(VALU_DEP_2) | instskip(NEXT) | instid1(VALU_DEP_2)
	v_fma_mixhi_f16 v1, v17, s6, 0
	v_fma_mixhi_f16 v0, v15, s6, 0
	ds_store_b64 v8, v[0:1] offset:512
.LBB0_4:
	s_or_b32 exec_lo, exec_lo, s2
	v_or_b32_e32 v18, 1, v6
	s_delay_alu instid0(VALU_DEP_1) | instskip(SKIP_1) | instid1(VALU_DEP_2)
	v_and_b32_e32 v10, 29, v18
	v_mul_u32_u24_e32 v22, 0xa0, v18
	v_mad_u64_u32 v[0:1], null, s4, v10, 0
	s_delay_alu instid0(VALU_DEP_2) | instskip(NEXT) | instid1(VALU_DEP_2)
	v_add_lshl_u32 v7, v22, v7, 2
	v_mad_u64_u32 v[8:9], null, s5, v10, v[1:2]
	s_delay_alu instid0(VALU_DEP_1) | instskip(NEXT) | instid1(VALU_DEP_1)
	v_mov_b32_e32 v1, v8
	v_lshlrev_b64 v[0:1], 2, v[0:1]
	s_delay_alu instid0(VALU_DEP_1) | instskip(NEXT) | instid1(VALU_DEP_1)
	v_add_co_u32 v0, s2, v2, v0
	v_add_co_ci_u32_e64 v1, s2, v3, v1, s2
	s_clause 0x1
	global_load_b128 v[8:11], v[0:1], off
	global_load_b128 v[14:17], v[0:1], off offset:512
	s_waitcnt vmcnt(1)
	v_fma_mixlo_f16 v19, v10, s6, 0
	v_fma_mixlo_f16 v18, v8, s6, 0
	s_waitcnt vmcnt(0)
	v_fma_mixlo_f16 v21, v16, s6, 0
	v_fma_mixlo_f16 v20, v14, s6, 0
	v_fma_mixhi_f16 v19, v11, s6, 0
	v_fma_mixhi_f16 v18, v9, s6, 0
	s_delay_alu instid0(VALU_DEP_4) | instskip(NEXT) | instid1(VALU_DEP_4)
	v_fma_mixhi_f16 v21, v17, s6, 0
	v_fma_mixhi_f16 v20, v15, s6, 0
	ds_store_2addr_b64 v7, v[18:19], v[20:21] offset1:32
	s_and_saveexec_b32 s2, vcc_lo
	s_cbranch_execz .LBB0_6
; %bb.5:
	global_load_b128 v[8:11], v[0:1], off offset:1024
	s_waitcnt vmcnt(0)
	v_fma_mixlo_f16 v1, v10, s6, 0
	v_fma_mixlo_f16 v0, v8, s6, 0
	s_delay_alu instid0(VALU_DEP_2) | instskip(NEXT) | instid1(VALU_DEP_2)
	v_fma_mixhi_f16 v1, v11, s6, 0
	v_fma_mixhi_f16 v0, v9, s6, 0
	ds_store_b64 v7, v[0:1] offset:512
.LBB0_6:
	s_or_b32 exec_lo, exec_lo, s2
	v_or_b32_e32 v0, 2, v6
	s_delay_alu instid0(VALU_DEP_1) | instskip(NEXT) | instid1(VALU_DEP_1)
	v_and_b32_e32 v10, 30, v0
	v_mad_u64_u32 v[0:1], null, s4, v10, 0
	s_delay_alu instid0(VALU_DEP_1) | instskip(NEXT) | instid1(VALU_DEP_1)
	v_mad_u64_u32 v[8:9], null, s5, v10, v[1:2]
	v_mov_b32_e32 v1, v8
	s_delay_alu instid0(VALU_DEP_1) | instskip(NEXT) | instid1(VALU_DEP_1)
	v_lshlrev_b64 v[0:1], 2, v[0:1]
	v_add_co_u32 v0, s2, v2, v0
	s_delay_alu instid0(VALU_DEP_1)
	v_add_co_ci_u32_e64 v1, s2, v3, v1, s2
	s_clause 0x1
	global_load_b128 v[8:11], v[0:1], off
	global_load_b128 v[14:17], v[0:1], off offset:512
	s_waitcnt vmcnt(1)
	v_fma_mixlo_f16 v19, v10, s6, 0
	v_fma_mixlo_f16 v18, v8, s6, 0
	s_waitcnt vmcnt(0)
	v_fma_mixlo_f16 v21, v16, s6, 0
	v_fma_mixlo_f16 v20, v14, s6, 0
	v_fma_mixhi_f16 v19, v11, s6, 0
	v_fma_mixhi_f16 v18, v9, s6, 0
	s_delay_alu instid0(VALU_DEP_4) | instskip(NEXT) | instid1(VALU_DEP_4)
	v_fma_mixhi_f16 v21, v17, s6, 0
	v_fma_mixhi_f16 v20, v15, s6, 0
	ds_store_2addr_b64 v7, v[18:19], v[20:21] offset0:80 offset1:112
	s_and_saveexec_b32 s2, vcc_lo
	s_cbranch_execz .LBB0_8
; %bb.7:
	global_load_b128 v[8:11], v[0:1], off offset:1024
	s_waitcnt vmcnt(0)
	v_fma_mixlo_f16 v1, v10, s6, 0
	v_fma_mixlo_f16 v0, v8, s6, 0
	s_delay_alu instid0(VALU_DEP_2) | instskip(NEXT) | instid1(VALU_DEP_2)
	v_fma_mixhi_f16 v1, v11, s6, 0
	v_fma_mixhi_f16 v0, v9, s6, 0
	ds_store_b64 v7, v[0:1] offset:1152
.LBB0_8:
	s_or_b32 exec_lo, exec_lo, s2
	v_or_b32_e32 v0, 3, v6
	s_delay_alu instid0(VALU_DEP_1) | instskip(NEXT) | instid1(VALU_DEP_1)
	v_and_b32_e32 v10, 31, v0
	v_mad_u64_u32 v[0:1], null, s4, v10, 0
	s_delay_alu instid0(VALU_DEP_1) | instskip(NEXT) | instid1(VALU_DEP_1)
	v_mad_u64_u32 v[8:9], null, s5, v10, v[1:2]
	v_mov_b32_e32 v1, v8
	s_delay_alu instid0(VALU_DEP_1) | instskip(NEXT) | instid1(VALU_DEP_1)
	v_lshlrev_b64 v[0:1], 2, v[0:1]
	v_add_co_u32 v0, s2, v2, v0
	s_delay_alu instid0(VALU_DEP_1)
	v_add_co_ci_u32_e64 v1, s2, v3, v1, s2
	s_clause 0x1
	global_load_b128 v[8:11], v[0:1], off
	global_load_b128 v[14:17], v[0:1], off offset:512
	s_waitcnt vmcnt(1)
	v_fma_mixlo_f16 v3, v10, s6, 0
	v_fma_mixlo_f16 v2, v8, s6, 0
	s_waitcnt vmcnt(0)
	v_fma_mixlo_f16 v19, v16, s6, 0
	v_fma_mixlo_f16 v18, v14, s6, 0
	v_fma_mixhi_f16 v3, v11, s6, 0
	v_fma_mixhi_f16 v2, v9, s6, 0
	s_delay_alu instid0(VALU_DEP_4) | instskip(NEXT) | instid1(VALU_DEP_4)
	v_fma_mixhi_f16 v19, v17, s6, 0
	v_fma_mixhi_f16 v18, v15, s6, 0
	ds_store_2addr_b64 v7, v[2:3], v[18:19] offset0:160 offset1:192
	s_and_saveexec_b32 s2, vcc_lo
	s_cbranch_execz .LBB0_10
; %bb.9:
	global_load_b128 v[0:3], v[0:1], off offset:1024
	s_waitcnt vmcnt(0)
	v_fma_mixlo_f16 v9, v2, s6, 0
	v_fma_mixlo_f16 v8, v0, s6, 0
	s_delay_alu instid0(VALU_DEP_2) | instskip(NEXT) | instid1(VALU_DEP_2)
	v_fma_mixhi_f16 v9, v3, s6, 0
	v_fma_mixhi_f16 v8, v1, s6, 0
	ds_store_b64 v7, v[8:9] offset:1792
.LBB0_10:
	s_or_b32 exec_lo, exec_lo, s2
	s_cmp_eq_u64 s[26:27], 0
	s_waitcnt lgkmcnt(0)
	s_barrier
	buffer_gl0_inv
	s_cbranch_scc1 .LBB0_12
; %bb.11:
	s_load_b32 s2, s[0:1], 0xd0
	s_mov_b32 s5, 0
	s_waitcnt lgkmcnt(0)
	s_mul_i32 s2, s2, s33
	s_delay_alu instid0(SALU_CYCLE_1) | instskip(NEXT) | instid1(SALU_CYCLE_1)
	s_add_i32 s4, s2, s13
	s_lshl_b64 s[4:5], s[4:5], 2
	s_delay_alu instid0(SALU_CYCLE_1)
	s_add_u32 s4, s26, s4
	s_addc_u32 s5, s27, s5
	s_load_b32 s34, s[4:5], 0x0
.LBB0_12:
	v_lshlrev_b32_e32 v31, 2, v13
	v_mbcnt_lo_u32_b32 v33, -1, 0
	s_lshl_b32 s9, s14, 7
	s_waitcnt lgkmcnt(0)
	s_cmp_lt_i32 s9, s34
	s_cbranch_scc1 .LBB0_14
; %bb.13:
	v_mbcnt_lo_u32_b32 v8, -1, 0
	v_mov_b32_e32 v7, 32
	s_mov_b32 s2, 0
	s_mov_b32 s4, 0xfeffffff
	s_delay_alu instid0(VALU_DEP_2)
	v_xor_b32_e32 v38, 16, v8
	v_xor_b32_e32 v37, 8, v8
	;; [unrolled: 1-line block ×5, first 2 shown]
	s_branch .LBB0_15
.LBB0_14:
	s_mov_b32 s2, -1
                                        ; implicit-def: $sgpr4
                                        ; implicit-def: $vgpr8
                                        ; implicit-def: $vgpr7
                                        ; implicit-def: $vgpr38
                                        ; implicit-def: $vgpr37
                                        ; implicit-def: $vgpr36
                                        ; implicit-def: $vgpr35
                                        ; implicit-def: $vgpr34
.LBB0_15:
	s_delay_alu instid0(SALU_CYCLE_1) | instskip(SKIP_3) | instid1(VALU_DEP_4)
	v_cndmask_b32_e64 v0, 0, 1, s2
	v_dual_mov_b32 v3, s4 :: v_dual_mov_b32 v2, s4
	v_mov_b32_e32 v39, s2
	v_dual_mov_b32 v77, s2 :: v_dual_mov_b32 v40, s2
	v_cmp_ne_u32_e32 vcc_lo, 1, v0
	v_dual_mov_b32 v1, s4 :: v_dual_mov_b32 v42, s2
	v_dual_mov_b32 v0, s4 :: v_dual_mov_b32 v41, s2
	v_mov_b32_e32 v80, s2
	v_dual_mov_b32 v78, s2 :: v_dual_mov_b32 v79, s2
	v_dual_mov_b32 v73, s2 :: v_dual_mov_b32 v76, s2
	;; [unrolled: 1-line block ×7, first 2 shown]
	s_cbranch_vccnz .LBB0_19
; %bb.16:
	s_clause 0x1
	s_load_b128 s[4:7], s[0:1], 0x98
	s_load_b64 s[22:23], s[0:1], 0x8c
	s_sub_i32 s2, 0, s12
	s_abs_i32 s8, s15
	s_mul_i32 s2, s2, s38
	s_ashr_i32 s13, s15, 31
	s_mul_hi_u32 s2, s38, s2
	s_ashr_i32 s35, s35, 31
	s_add_i32 s38, s38, s2
	s_ashr_i32 s2, s3, 1
	s_mul_hi_u32 s3, s8, s38
	s_ashr_i32 s38, s33, 31
	s_load_b64 s[26:27], s[0:1], 0xa8
	s_mul_i32 s39, s3, s12
	v_lshrrev_b32_e32 v0, 3, v13
	v_mov_b32_e32 v65, 0
	v_and_b32_e32 v17, 28, v31
	v_dual_mov_b32 v70, 0 :: v_dual_lshlrev_b32 v47, 2, v31
	s_delay_alu instid0(VALU_DEP_4)
	v_add_nc_u32_e32 v0, v0, v6
	s_waitcnt lgkmcnt(0)
	s_ashr_i32 s16, s6, 2
	s_mul_i32 s5, s33, s5
	s_mul_hi_u32 s6, s33, s4
	s_ashr_i32 s17, s22, 2
	s_mul_i32 s22, s38, s4
	s_add_i32 s5, s6, s5
	s_mul_i32 s4, s33, s4
	s_add_i32 s5, s5, s22
	s_add_u32 s4, s18, s4
	s_addc_u32 s5, s19, s5
	s_sub_i32 s8, s8, s39
	s_xor_b32 s6, s13, s35
	s_add_i32 s13, s3, 1
	s_sub_i32 s18, s8, s12
	s_cmp_ge_u32 s8, s12
	s_mul_i32 s38, s38, s26
	s_cselect_b32 s3, s13, s3
	s_cselect_b32 s8, s18, s8
	s_add_i32 s13, s3, 1
	s_cmp_ge_u32 s8, s12
	s_mul_i32 s8, s33, s27
	s_cselect_b32 s3, s13, s3
	s_mul_hi_u32 s12, s33, s26
	s_xor_b32 s3, s3, s6
	v_mul_lo_u32 v1, s17, v0
	s_sub_i32 s3, s3, s6
	s_mul_i32 s13, s33, s26
	s_mul_i32 s6, s3, s23
	;; [unrolled: 1-line block ×3, first 2 shown]
	s_ashr_i32 s19, s6, 31
	s_add_u32 s18, s4, s6
	s_addc_u32 s19, s5, s19
	s_add_i32 s4, s12, s8
	v_mul_lo_u32 v3, s16, v4
	s_add_i32 s4, s4, s38
	s_add_u32 s5, s20, s13
	s_addc_u32 s4, s21, s4
	s_ashr_i32 s6, s3, 31
	s_add_u32 s20, s5, s3
	s_addc_u32 s21, s4, s6
	s_lshl_b32 s3, s17, 5
	s_delay_alu instid0(SALU_CYCLE_1) | instskip(SKIP_2) | instid1(VALU_DEP_3)
	v_dual_mov_b32 v71, 0 :: v_dual_add_nc_u32 v6, s3, v1
	v_dual_mov_b32 v69, 0 :: v_dual_lshlrev_b32 v2, 2, v17
	v_dual_mov_b32 v67, 0 :: v_dual_mov_b32 v72, 0
	v_add_nc_u32_e32 v8, s3, v6
	v_ashrrev_i32_e32 v7, 31, v6
	s_delay_alu instid0(VALU_DEP_4)
	v_mad_u32_u24 v0, 0x90, v0, v2
	v_ashrrev_i32_e32 v2, 31, v1
	v_mov_b32_e32 v74, 0
	v_dual_mov_b32 v73, 0 :: v_dual_add_nc_u32 v10, s3, v8
	s_lshl_b32 s3, s16, 3
	v_dual_mov_b32 v66, 0 :: v_dual_add_nc_u32 v43, 0x5000, v0
	v_add_nc_u32_e32 v25, s3, v3
	v_dual_mov_b32 v75, 0 :: v_dual_add_nc_u32 v44, 0x6200, v0
	v_dual_mov_b32 v68, 0 :: v_dual_add_nc_u32 v45, 0x7400, v0
	s_delay_alu instid0(VALU_DEP_3) | instskip(SKIP_3) | instid1(VALU_DEP_4)
	v_add_nc_u32_e32 v27, s3, v25
	v_ashrrev_i32_e32 v9, 31, v8
	v_dual_mov_b32 v79, 0 :: v_dual_add_nc_u32 v46, 0x8600, v0
	v_ashrrev_i32_e32 v11, 31, v10
	v_dual_mov_b32 v80, 0 :: v_dual_add_nc_u32 v29, s3, v27
	v_mul_u32_u24_e32 v49, 0xa00, v4
	v_lshl_add_u32 v0, v4, 9, v47
	v_lshl_add_u32 v50, v4, 10, 0x9800
	v_ashrrev_i32_e32 v4, 31, v3
	v_ashrrev_i32_e32 v26, 31, v25
	;; [unrolled: 1-line block ×4, first 2 shown]
	v_mad_u64_u32 v[14:15], null, v5, s2, v[13:14]
	v_dual_mov_b32 v76, 0 :: v_dual_lshlrev_b32 v5, 3, v13
	v_dual_mov_b32 v78, 0 :: v_dual_add_nc_u32 v51, 0x5000, v0
	v_dual_mov_b32 v77, 0 :: v_dual_add_nc_u32 v52, 0x6000, v0
	;; [unrolled: 1-line block ×4, first 2 shown]
	v_mov_b32_e32 v0, 0xfeffffff
	v_lshlrev_b64 v[15:16], 2, v[1:2]
	v_dual_mov_b32 v2, 0xfeffffff :: v_dual_lshlrev_b32 v55, 2, v17
	v_lshlrev_b64 v[17:18], 2, v[6:7]
	v_lshlrev_b64 v[19:20], 2, v[8:9]
	;; [unrolled: 1-line block ×7, first 2 shown]
	v_mul_u32_u24_e32 v48, 0x90, v13
	v_xor_b32_e32 v38, 16, v33
	v_xor_b32_e32 v37, 8, v33
	;; [unrolled: 1-line block ×5, first 2 shown]
	v_dual_mov_b32 v1, 0xfeffffff :: v_dual_add_nc_u32 v56, v50, v5
	v_dual_mov_b32 v40, 0 :: v_dual_add_nc_u32 v57, 0x5000, v5
	;; [unrolled: 1-line block ×3, first 2 shown]
	v_add_nc_u32_e32 v59, 0x6000, v5
	v_add_nc_u32_e32 v60, 0x6800, v5
	;; [unrolled: 1-line block ×6, first 2 shown]
	v_mov_b32_e32 v3, 0xfeffffff
	s_add_u32 s12, s0, 0xd0
	s_addc_u32 s13, s1, 0
.LBB0_17:                               ; =>This Inner Loop Header: Depth=1
	s_mul_hi_i32 s3, s9, s17
	s_mul_i32 s2, s9, s17
	v_mov_b32_e32 v87, 0
	s_lshl_b64 s[2:3], s[2:3], 2
	v_dual_mov_b32 v95, 0 :: v_dual_mov_b32 v92, 0
	s_add_u32 s2, s18, s2
	s_addc_u32 s3, s19, s3
	v_add_co_u32 v4, vcc_lo, s2, v15
	v_add_co_ci_u32_e32 v5, vcc_lo, s3, v16, vcc_lo
	v_mov_b32_e32 v85, 0
	s_delay_alu instid0(VALU_DEP_3) | instskip(NEXT) | instid1(VALU_DEP_3)
	v_add_co_u32 v8, vcc_lo, v4, v55
	v_add_co_ci_u32_e32 v9, vcc_lo, 0, v5, vcc_lo
	v_dual_mov_b32 v96, 0 :: v_dual_mov_b32 v93, 0
	v_mov_b32_e32 v86, 0
	global_load_b128 v[4:7], v[8:9], off
	v_mov_b32_e32 v94, 0
	s_waitcnt vmcnt(0)
	ds_store_b128 v43, v[4:7]
	v_add_co_u32 v4, vcc_lo, s2, v17
	v_add_co_ci_u32_e32 v5, vcc_lo, s3, v18, vcc_lo
	s_delay_alu instid0(VALU_DEP_2) | instskip(NEXT) | instid1(VALU_DEP_2)
	v_add_co_u32 v4, vcc_lo, v4, v55
	v_add_co_ci_u32_e32 v5, vcc_lo, 0, v5, vcc_lo
	v_add_co_u32 v6, vcc_lo, s2, v19
	v_add_co_ci_u32_e32 v7, vcc_lo, s3, v20, vcc_lo
	global_load_b128 v[81:84], v[4:5], off
	v_add_co_u32 v6, vcc_lo, v6, v55
	v_add_co_ci_u32_e32 v7, vcc_lo, 0, v7, vcc_lo
	v_add_co_u32 v10, vcc_lo, s2, v21
	v_add_co_ci_u32_e32 v11, vcc_lo, s3, v22, vcc_lo
	s_mul_hi_i32 s3, s9, s16
	s_delay_alu instid0(VALU_DEP_2) | instskip(NEXT) | instid1(VALU_DEP_2)
	v_add_co_u32 v10, vcc_lo, v10, v55
	v_add_co_ci_u32_e32 v11, vcc_lo, 0, v11, vcc_lo
	s_mul_i32 s2, s9, s16
	s_delay_alu instid0(SALU_CYCLE_1) | instskip(NEXT) | instid1(SALU_CYCLE_1)
	s_lshl_b64 s[2:3], s[2:3], 2
	s_add_u32 s22, s20, s2
	s_addc_u32 s23, s21, s3
	s_waitcnt vmcnt(0)
	ds_store_b128 v44, v[81:84]
	global_load_b128 v[81:84], v[6:7], off
	s_waitcnt vmcnt(0)
	ds_store_b128 v45, v[81:84]
	global_load_b128 v[81:84], v[10:11], off
	s_waitcnt vmcnt(0)
	ds_store_b128 v46, v[81:84]
	s_waitcnt lgkmcnt(0)
	s_barrier
	buffer_gl0_inv
	ds_load_b128 v[88:91], v48 offset:20480
	ds_load_b128 v[97:100], v49
	ds_load_b128 v[101:104], v49 offset:640
	ds_load_b128 v[105:108], v49 offset:1280
	;; [unrolled: 1-line block ×6, first 2 shown]
	v_mov_b32_e32 v82, 0
	s_waitcnt lgkmcnt(6)
	;;#ASMSTART
	v_dot2_f32_f16 v87, v88, v97, v87
	;;#ASMEND
	;;#ASMSTART
	v_dot2_f32_f16 v87, v89, v98, v87
	;;#ASMEND
	;; [unrolled: 3-line block ×4, first 2 shown]
	s_waitcnt lgkmcnt(5)
	;;#ASMSTART
	v_dot2_f32_f16 v82, v88, v101, v82
	;;#ASMEND
	;;#ASMSTART
	v_dot2_f32_f16 v82, v89, v102, v82
	;;#ASMEND
	;; [unrolled: 3-line block ×3, first 2 shown]
	v_dual_mov_b32 v81, 0 :: v_dual_mov_b32 v84, 0
	;;#ASMSTART
	v_dot2_f32_f16 v82, v91, v104, v82
	;;#ASMEND
	s_waitcnt lgkmcnt(4)
	;;#ASMSTART
	v_dot2_f32_f16 v81, v88, v105, v81
	;;#ASMEND
	;;#ASMSTART
	v_dot2_f32_f16 v81, v89, v106, v81
	;;#ASMEND
	;; [unrolled: 3-line block ×3, first 2 shown]
	v_mov_b32_e32 v83, 0
	;;#ASMSTART
	v_dot2_f32_f16 v81, v91, v108, v81
	;;#ASMEND
	s_waitcnt lgkmcnt(3)
	;;#ASMSTART
	v_dot2_f32_f16 v83, v88, v109, v83
	;;#ASMEND
	;;#ASMSTART
	v_dot2_f32_f16 v83, v89, v110, v83
	;;#ASMEND
	;; [unrolled: 3-line block ×4, first 2 shown]
	s_waitcnt lgkmcnt(2)
	;;#ASMSTART
	v_dot2_f32_f16 v95, v113, v97, v95
	;;#ASMEND
	;;#ASMSTART
	v_dot2_f32_f16 v95, v114, v98, v95
	;;#ASMEND
	;;#ASMSTART
	v_dot2_f32_f16 v95, v115, v99, v95
	;;#ASMEND
	;;#ASMSTART
	v_dot2_f32_f16 v95, v116, v100, v95
	;;#ASMEND
	v_mov_b32_e32 v88, 0
	;;#ASMSTART
	v_dot2_f32_f16 v85, v113, v101, v85
	;;#ASMEND
	;;#ASMSTART
	v_dot2_f32_f16 v85, v114, v102, v85
	;;#ASMEND
	;; [unrolled: 3-line block ×12, first 2 shown]
	s_waitcnt lgkmcnt(1)
	;;#ASMSTART
	v_dot2_f32_f16 v92, v117, v97, v92
	;;#ASMEND
	;;#ASMSTART
	v_dot2_f32_f16 v92, v118, v98, v92
	;;#ASMEND
	;;#ASMSTART
	v_dot2_f32_f16 v92, v119, v99, v92
	;;#ASMEND
	v_dual_mov_b32 v89, 0 :: v_dual_mov_b32 v90, 0
	;;#ASMSTART
	v_dot2_f32_f16 v92, v120, v100, v92
	;;#ASMEND
	;;#ASMSTART
	v_dot2_f32_f16 v89, v117, v101, v89
	;;#ASMEND
	;; [unrolled: 3-line block ×13, first 2 shown]
	s_waitcnt lgkmcnt(0)
	;;#ASMSTART
	v_dot2_f32_f16 v96, v121, v97, v96
	;;#ASMEND
	;;#ASMSTART
	v_dot2_f32_f16 v96, v122, v98, v96
	;;#ASMEND
	;; [unrolled: 3-line block ×7, first 2 shown]
	v_mov_b32_e32 v91, 0
	;;#ASMSTART
	v_dot2_f32_f16 v93, v124, v104, v93
	;;#ASMEND
	;;#ASMSTART
	v_dot2_f32_f16 v91, v121, v105, v91
	;;#ASMEND
	;; [unrolled: 3-line block ×9, first 2 shown]
	ds_load_b128 v[97:100], v48 offset:20496
	ds_load_b128 v[101:104], v49 offset:16
	;; [unrolled: 1-line block ×8, first 2 shown]
	s_waitcnt lgkmcnt(6)
	;;#ASMSTART
	v_dot2_f32_f16 v87, v97, v101, v87
	;;#ASMEND
	;;#ASMSTART
	v_dot2_f32_f16 v87, v98, v102, v87
	;;#ASMEND
	;;#ASMSTART
	v_dot2_f32_f16 v87, v99, v103, v87
	;;#ASMEND
	;;#ASMSTART
	v_dot2_f32_f16 v87, v100, v104, v87
	;;#ASMEND
	s_waitcnt lgkmcnt(5)
	;;#ASMSTART
	v_dot2_f32_f16 v82, v97, v105, v82
	;;#ASMEND
	;;#ASMSTART
	v_dot2_f32_f16 v82, v98, v106, v82
	;;#ASMEND
	;;#ASMSTART
	v_dot2_f32_f16 v82, v99, v107, v82
	;;#ASMEND
	;;#ASMSTART
	v_dot2_f32_f16 v82, v100, v108, v82
	;;#ASMEND
	;; [unrolled: 13-line block ×5, first 2 shown]
	;;#ASMSTART
	v_dot2_f32_f16 v85, v117, v105, v85
	;;#ASMEND
	;;#ASMSTART
	v_dot2_f32_f16 v85, v118, v106, v85
	;;#ASMEND
	;; [unrolled: 3-line block ×12, first 2 shown]
	s_waitcnt lgkmcnt(1)
	;;#ASMSTART
	v_dot2_f32_f16 v92, v121, v101, v92
	;;#ASMEND
	;;#ASMSTART
	v_dot2_f32_f16 v92, v122, v102, v92
	;;#ASMEND
	;; [unrolled: 3-line block ×16, first 2 shown]
	s_waitcnt lgkmcnt(0)
	;;#ASMSTART
	v_dot2_f32_f16 v96, v125, v101, v96
	;;#ASMEND
	;;#ASMSTART
	v_dot2_f32_f16 v96, v126, v102, v96
	;;#ASMEND
	;; [unrolled: 3-line block ×16, first 2 shown]
	ds_load_b128 v[97:100], v48 offset:20512
	ds_load_b128 v[101:104], v49 offset:32
	;; [unrolled: 1-line block ×8, first 2 shown]
	s_waitcnt lgkmcnt(6)
	;;#ASMSTART
	v_dot2_f32_f16 v87, v97, v101, v87
	;;#ASMEND
	;;#ASMSTART
	v_dot2_f32_f16 v87, v98, v102, v87
	;;#ASMEND
	;;#ASMSTART
	v_dot2_f32_f16 v87, v99, v103, v87
	;;#ASMEND
	;;#ASMSTART
	v_dot2_f32_f16 v87, v100, v104, v87
	;;#ASMEND
	s_waitcnt lgkmcnt(5)
	;;#ASMSTART
	v_dot2_f32_f16 v82, v97, v105, v82
	;;#ASMEND
	;;#ASMSTART
	v_dot2_f32_f16 v82, v98, v106, v82
	;;#ASMEND
	;;#ASMSTART
	v_dot2_f32_f16 v82, v99, v107, v82
	;;#ASMEND
	;;#ASMSTART
	v_dot2_f32_f16 v82, v100, v108, v82
	;;#ASMEND
	;; [unrolled: 13-line block ×5, first 2 shown]
	;;#ASMSTART
	v_dot2_f32_f16 v85, v117, v105, v85
	;;#ASMEND
	;;#ASMSTART
	v_dot2_f32_f16 v85, v118, v106, v85
	;;#ASMEND
	;; [unrolled: 3-line block ×12, first 2 shown]
	s_waitcnt lgkmcnt(1)
	;;#ASMSTART
	v_dot2_f32_f16 v92, v121, v101, v92
	;;#ASMEND
	;;#ASMSTART
	v_dot2_f32_f16 v92, v122, v102, v92
	;;#ASMEND
	;; [unrolled: 3-line block ×16, first 2 shown]
	s_waitcnt lgkmcnt(0)
	;;#ASMSTART
	v_dot2_f32_f16 v96, v125, v101, v96
	;;#ASMEND
	;;#ASMSTART
	v_dot2_f32_f16 v96, v126, v102, v96
	;;#ASMEND
	;; [unrolled: 3-line block ×16, first 2 shown]
	ds_load_b128 v[97:100], v48 offset:20528
	ds_load_b128 v[101:104], v49 offset:48
	;; [unrolled: 1-line block ×8, first 2 shown]
	s_waitcnt lgkmcnt(6)
	;;#ASMSTART
	v_dot2_f32_f16 v87, v97, v101, v87
	;;#ASMEND
	;;#ASMSTART
	v_dot2_f32_f16 v87, v98, v102, v87
	;;#ASMEND
	;;#ASMSTART
	v_dot2_f32_f16 v87, v99, v103, v87
	;;#ASMEND
	;;#ASMSTART
	v_dot2_f32_f16 v87, v100, v104, v87
	;;#ASMEND
	s_waitcnt lgkmcnt(5)
	;;#ASMSTART
	v_dot2_f32_f16 v82, v97, v105, v82
	;;#ASMEND
	;;#ASMSTART
	v_dot2_f32_f16 v82, v98, v106, v82
	;;#ASMEND
	;;#ASMSTART
	v_dot2_f32_f16 v82, v99, v107, v82
	;;#ASMEND
	;;#ASMSTART
	v_dot2_f32_f16 v82, v100, v108, v82
	;;#ASMEND
	;; [unrolled: 13-line block ×5, first 2 shown]
	;;#ASMSTART
	v_dot2_f32_f16 v85, v117, v105, v85
	;;#ASMEND
	;;#ASMSTART
	v_dot2_f32_f16 v85, v118, v106, v85
	;;#ASMEND
	;; [unrolled: 3-line block ×12, first 2 shown]
	s_waitcnt lgkmcnt(1)
	;;#ASMSTART
	v_dot2_f32_f16 v92, v121, v101, v92
	;;#ASMEND
	;;#ASMSTART
	v_dot2_f32_f16 v92, v122, v102, v92
	;;#ASMEND
	;; [unrolled: 3-line block ×16, first 2 shown]
	s_waitcnt lgkmcnt(0)
	;;#ASMSTART
	v_dot2_f32_f16 v96, v125, v101, v96
	;;#ASMEND
	;;#ASMSTART
	v_dot2_f32_f16 v96, v126, v102, v96
	;;#ASMEND
	;; [unrolled: 3-line block ×16, first 2 shown]
	ds_load_b128 v[97:100], v48 offset:20544
	ds_load_b128 v[101:104], v49 offset:64
	;; [unrolled: 1-line block ×8, first 2 shown]
	s_waitcnt lgkmcnt(6)
	;;#ASMSTART
	v_dot2_f32_f16 v87, v97, v101, v87
	;;#ASMEND
	;;#ASMSTART
	v_dot2_f32_f16 v87, v98, v102, v87
	;;#ASMEND
	;;#ASMSTART
	v_dot2_f32_f16 v87, v99, v103, v87
	;;#ASMEND
	;;#ASMSTART
	v_dot2_f32_f16 v87, v100, v104, v87
	;;#ASMEND
	s_waitcnt lgkmcnt(5)
	;;#ASMSTART
	v_dot2_f32_f16 v82, v97, v105, v82
	;;#ASMEND
	;;#ASMSTART
	v_dot2_f32_f16 v82, v98, v106, v82
	;;#ASMEND
	;;#ASMSTART
	v_dot2_f32_f16 v82, v99, v107, v82
	;;#ASMEND
	;;#ASMSTART
	v_dot2_f32_f16 v82, v100, v108, v82
	;;#ASMEND
	;; [unrolled: 13-line block ×5, first 2 shown]
	;;#ASMSTART
	v_dot2_f32_f16 v85, v117, v105, v85
	;;#ASMEND
	;;#ASMSTART
	v_dot2_f32_f16 v85, v118, v106, v85
	;;#ASMEND
	;;#ASMSTART
	v_dot2_f32_f16 v85, v119, v107, v85
	;;#ASMEND
	;;#ASMSTART
	v_dot2_f32_f16 v85, v120, v108, v85
	;;#ASMEND
	;;#ASMSTART
	v_dot2_f32_f16 v84, v117, v109, v84
	;;#ASMEND
	;;#ASMSTART
	v_dot2_f32_f16 v84, v118, v110, v84
	;;#ASMEND
	;;#ASMSTART
	v_dot2_f32_f16 v84, v119, v111, v84
	;;#ASMEND
	;;#ASMSTART
	v_dot2_f32_f16 v84, v120, v112, v84
	;;#ASMEND
	;;#ASMSTART
	v_dot2_f32_f16 v86, v117, v113, v86
	;;#ASMEND
	;;#ASMSTART
	v_dot2_f32_f16 v86, v118, v114, v86
	;;#ASMEND
	;;#ASMSTART
	v_dot2_f32_f16 v86, v119, v115, v86
	;;#ASMEND
	;;#ASMSTART
	v_dot2_f32_f16 v86, v120, v116, v86
	;;#ASMEND
	s_waitcnt lgkmcnt(1)
	;;#ASMSTART
	v_dot2_f32_f16 v92, v121, v101, v92
	;;#ASMEND
	;;#ASMSTART
	v_dot2_f32_f16 v92, v122, v102, v92
	;;#ASMEND
	;; [unrolled: 3-line block ×16, first 2 shown]
	s_waitcnt lgkmcnt(0)
	;;#ASMSTART
	v_dot2_f32_f16 v96, v125, v101, v96
	;;#ASMEND
	;;#ASMSTART
	v_dot2_f32_f16 v96, v126, v102, v96
	;;#ASMEND
	;; [unrolled: 3-line block ×16, first 2 shown]
	ds_load_b128 v[97:100], v48 offset:20560
	ds_load_b128 v[101:104], v49 offset:80
	;; [unrolled: 1-line block ×8, first 2 shown]
	s_waitcnt lgkmcnt(6)
	;;#ASMSTART
	v_dot2_f32_f16 v87, v97, v101, v87
	;;#ASMEND
	;;#ASMSTART
	v_dot2_f32_f16 v87, v98, v102, v87
	;;#ASMEND
	;;#ASMSTART
	v_dot2_f32_f16 v87, v99, v103, v87
	;;#ASMEND
	;;#ASMSTART
	v_dot2_f32_f16 v87, v100, v104, v87
	;;#ASMEND
	s_waitcnt lgkmcnt(5)
	;;#ASMSTART
	v_dot2_f32_f16 v82, v97, v105, v82
	;;#ASMEND
	;;#ASMSTART
	v_dot2_f32_f16 v82, v98, v106, v82
	;;#ASMEND
	;;#ASMSTART
	v_dot2_f32_f16 v82, v99, v107, v82
	;;#ASMEND
	;;#ASMSTART
	v_dot2_f32_f16 v82, v100, v108, v82
	;;#ASMEND
	;; [unrolled: 13-line block ×5, first 2 shown]
	;;#ASMSTART
	v_dot2_f32_f16 v85, v117, v105, v85
	;;#ASMEND
	;;#ASMSTART
	v_dot2_f32_f16 v85, v118, v106, v85
	;;#ASMEND
	;; [unrolled: 3-line block ×12, first 2 shown]
	s_waitcnt lgkmcnt(1)
	;;#ASMSTART
	v_dot2_f32_f16 v92, v121, v101, v92
	;;#ASMEND
	;;#ASMSTART
	v_dot2_f32_f16 v92, v122, v102, v92
	;;#ASMEND
	;; [unrolled: 3-line block ×16, first 2 shown]
	s_waitcnt lgkmcnt(0)
	;;#ASMSTART
	v_dot2_f32_f16 v96, v125, v101, v96
	;;#ASMEND
	;;#ASMSTART
	v_dot2_f32_f16 v96, v126, v102, v96
	;;#ASMEND
	;; [unrolled: 3-line block ×16, first 2 shown]
	ds_load_b128 v[97:100], v48 offset:20576
	ds_load_b128 v[101:104], v49 offset:96
	;; [unrolled: 1-line block ×8, first 2 shown]
	s_waitcnt lgkmcnt(6)
	;;#ASMSTART
	v_dot2_f32_f16 v87, v97, v101, v87
	;;#ASMEND
	;;#ASMSTART
	v_dot2_f32_f16 v87, v98, v102, v87
	;;#ASMEND
	;;#ASMSTART
	v_dot2_f32_f16 v87, v99, v103, v87
	;;#ASMEND
	;;#ASMSTART
	v_dot2_f32_f16 v87, v100, v104, v87
	;;#ASMEND
	s_waitcnt lgkmcnt(5)
	;;#ASMSTART
	v_dot2_f32_f16 v82, v97, v105, v82
	;;#ASMEND
	;;#ASMSTART
	v_dot2_f32_f16 v82, v98, v106, v82
	;;#ASMEND
	;;#ASMSTART
	v_dot2_f32_f16 v82, v99, v107, v82
	;;#ASMEND
	;;#ASMSTART
	v_dot2_f32_f16 v82, v100, v108, v82
	;;#ASMEND
	;; [unrolled: 13-line block ×5, first 2 shown]
	;;#ASMSTART
	v_dot2_f32_f16 v85, v117, v105, v85
	;;#ASMEND
	;;#ASMSTART
	v_dot2_f32_f16 v85, v118, v106, v85
	;;#ASMEND
	;; [unrolled: 3-line block ×12, first 2 shown]
	s_waitcnt lgkmcnt(1)
	;;#ASMSTART
	v_dot2_f32_f16 v92, v121, v101, v92
	;;#ASMEND
	;;#ASMSTART
	v_dot2_f32_f16 v92, v122, v102, v92
	;;#ASMEND
	;; [unrolled: 3-line block ×16, first 2 shown]
	s_waitcnt lgkmcnt(0)
	;;#ASMSTART
	v_dot2_f32_f16 v96, v125, v101, v96
	;;#ASMEND
	;;#ASMSTART
	v_dot2_f32_f16 v96, v126, v102, v96
	;;#ASMEND
	;; [unrolled: 3-line block ×16, first 2 shown]
	ds_load_b128 v[97:100], v48 offset:20592
	ds_load_b128 v[101:104], v49 offset:112
	;; [unrolled: 1-line block ×8, first 2 shown]
	s_waitcnt lgkmcnt(6)
	;;#ASMSTART
	v_dot2_f32_f16 v87, v97, v101, v87
	;;#ASMEND
	;;#ASMSTART
	v_dot2_f32_f16 v87, v98, v102, v87
	;;#ASMEND
	;;#ASMSTART
	v_dot2_f32_f16 v87, v99, v103, v87
	;;#ASMEND
	;;#ASMSTART
	v_dot2_f32_f16 v87, v100, v104, v87
	;;#ASMEND
	s_waitcnt lgkmcnt(5)
	;;#ASMSTART
	v_dot2_f32_f16 v82, v97, v105, v82
	;;#ASMEND
	;;#ASMSTART
	v_dot2_f32_f16 v82, v98, v106, v82
	;;#ASMEND
	;;#ASMSTART
	v_dot2_f32_f16 v82, v99, v107, v82
	;;#ASMEND
	;;#ASMSTART
	v_dot2_f32_f16 v82, v100, v108, v82
	;;#ASMEND
	;; [unrolled: 13-line block ×5, first 2 shown]
	;;#ASMSTART
	v_dot2_f32_f16 v85, v117, v105, v85
	;;#ASMEND
	;;#ASMSTART
	v_dot2_f32_f16 v85, v118, v106, v85
	;;#ASMEND
	;; [unrolled: 3-line block ×12, first 2 shown]
	s_waitcnt lgkmcnt(1)
	;;#ASMSTART
	v_dot2_f32_f16 v92, v121, v101, v92
	;;#ASMEND
	;;#ASMSTART
	v_dot2_f32_f16 v92, v122, v102, v92
	;;#ASMEND
	;;#ASMSTART
	v_dot2_f32_f16 v92, v123, v103, v92
	;;#ASMEND
	;;#ASMSTART
	v_dot2_f32_f16 v92, v124, v104, v92
	;;#ASMEND
	;;#ASMSTART
	v_dot2_f32_f16 v89, v121, v105, v89
	;;#ASMEND
	;;#ASMSTART
	v_dot2_f32_f16 v89, v122, v106, v89
	;;#ASMEND
	;;#ASMSTART
	v_dot2_f32_f16 v89, v123, v107, v89
	;;#ASMEND
	;;#ASMSTART
	v_dot2_f32_f16 v89, v124, v108, v89
	;;#ASMEND
	;;#ASMSTART
	v_dot2_f32_f16 v88, v121, v109, v88
	;;#ASMEND
	;;#ASMSTART
	v_dot2_f32_f16 v88, v122, v110, v88
	;;#ASMEND
	;;#ASMSTART
	v_dot2_f32_f16 v88, v123, v111, v88
	;;#ASMEND
	;;#ASMSTART
	v_dot2_f32_f16 v88, v124, v112, v88
	;;#ASMEND
	;;#ASMSTART
	v_dot2_f32_f16 v90, v121, v113, v90
	;;#ASMEND
	;;#ASMSTART
	v_dot2_f32_f16 v90, v122, v114, v90
	;;#ASMEND
	;;#ASMSTART
	v_dot2_f32_f16 v90, v123, v115, v90
	;;#ASMEND
	;;#ASMSTART
	v_dot2_f32_f16 v90, v124, v116, v90
	;;#ASMEND
	s_waitcnt lgkmcnt(0)
	;;#ASMSTART
	v_dot2_f32_f16 v96, v125, v101, v96
	;;#ASMEND
	;;#ASMSTART
	v_dot2_f32_f16 v96, v126, v102, v96
	;;#ASMEND
	;; [unrolled: 3-line block ×16, first 2 shown]
	s_barrier
	buffer_gl0_inv
	global_load_b128 v[97:100], v[8:9], off offset:128
	s_waitcnt vmcnt(0)
	ds_store_b128 v43, v[97:100]
	global_load_b128 v[97:100], v[4:5], off offset:128
	s_waitcnt vmcnt(0)
	ds_store_b128 v44, v[97:100]
	;; [unrolled: 3-line block ×4, first 2 shown]
	s_waitcnt lgkmcnt(0)
	s_barrier
	buffer_gl0_inv
	ds_load_b128 v[97:100], v48 offset:20480
	ds_load_b128 v[101:104], v49 offset:128
	;; [unrolled: 1-line block ×8, first 2 shown]
	s_waitcnt lgkmcnt(6)
	;;#ASMSTART
	v_dot2_f32_f16 v87, v97, v101, v87
	;;#ASMEND
	;;#ASMSTART
	v_dot2_f32_f16 v87, v98, v102, v87
	;;#ASMEND
	;;#ASMSTART
	v_dot2_f32_f16 v87, v99, v103, v87
	;;#ASMEND
	;;#ASMSTART
	v_dot2_f32_f16 v87, v100, v104, v87
	;;#ASMEND
	s_waitcnt lgkmcnt(5)
	;;#ASMSTART
	v_dot2_f32_f16 v82, v97, v105, v82
	;;#ASMEND
	;;#ASMSTART
	v_dot2_f32_f16 v82, v98, v106, v82
	;;#ASMEND
	;;#ASMSTART
	v_dot2_f32_f16 v82, v99, v107, v82
	;;#ASMEND
	;;#ASMSTART
	v_dot2_f32_f16 v82, v100, v108, v82
	;;#ASMEND
	;; [unrolled: 13-line block ×5, first 2 shown]
	;;#ASMSTART
	v_dot2_f32_f16 v85, v117, v105, v85
	;;#ASMEND
	;;#ASMSTART
	v_dot2_f32_f16 v85, v118, v106, v85
	;;#ASMEND
	;; [unrolled: 3-line block ×12, first 2 shown]
	s_waitcnt lgkmcnt(1)
	;;#ASMSTART
	v_dot2_f32_f16 v92, v121, v101, v92
	;;#ASMEND
	;;#ASMSTART
	v_dot2_f32_f16 v92, v122, v102, v92
	;;#ASMEND
	;; [unrolled: 3-line block ×16, first 2 shown]
	s_waitcnt lgkmcnt(0)
	;;#ASMSTART
	v_dot2_f32_f16 v96, v125, v101, v96
	;;#ASMEND
	;;#ASMSTART
	v_dot2_f32_f16 v96, v126, v102, v96
	;;#ASMEND
	;; [unrolled: 3-line block ×16, first 2 shown]
	ds_load_b128 v[97:100], v48 offset:20496
	ds_load_b128 v[101:104], v49 offset:144
	ds_load_b128 v[105:108], v49 offset:784
	ds_load_b128 v[109:112], v49 offset:1424
	ds_load_b128 v[113:116], v49 offset:2064
	ds_load_b128 v[117:120], v48 offset:25104
	ds_load_b128 v[121:124], v48 offset:29712
	ds_load_b128 v[125:128], v48 offset:34320
	s_waitcnt lgkmcnt(6)
	;;#ASMSTART
	v_dot2_f32_f16 v87, v97, v101, v87
	;;#ASMEND
	;;#ASMSTART
	v_dot2_f32_f16 v87, v98, v102, v87
	;;#ASMEND
	;;#ASMSTART
	v_dot2_f32_f16 v87, v99, v103, v87
	;;#ASMEND
	;;#ASMSTART
	v_dot2_f32_f16 v87, v100, v104, v87
	;;#ASMEND
	s_waitcnt lgkmcnt(5)
	;;#ASMSTART
	v_dot2_f32_f16 v82, v97, v105, v82
	;;#ASMEND
	;;#ASMSTART
	v_dot2_f32_f16 v82, v98, v106, v82
	;;#ASMEND
	;;#ASMSTART
	v_dot2_f32_f16 v82, v99, v107, v82
	;;#ASMEND
	;;#ASMSTART
	v_dot2_f32_f16 v82, v100, v108, v82
	;;#ASMEND
	;; [unrolled: 13-line block ×5, first 2 shown]
	;;#ASMSTART
	v_dot2_f32_f16 v85, v117, v105, v85
	;;#ASMEND
	;;#ASMSTART
	v_dot2_f32_f16 v85, v118, v106, v85
	;;#ASMEND
	;; [unrolled: 3-line block ×12, first 2 shown]
	s_waitcnt lgkmcnt(1)
	;;#ASMSTART
	v_dot2_f32_f16 v92, v121, v101, v92
	;;#ASMEND
	;;#ASMSTART
	v_dot2_f32_f16 v92, v122, v102, v92
	;;#ASMEND
	;; [unrolled: 3-line block ×16, first 2 shown]
	s_waitcnt lgkmcnt(0)
	;;#ASMSTART
	v_dot2_f32_f16 v96, v125, v101, v96
	;;#ASMEND
	;;#ASMSTART
	v_dot2_f32_f16 v96, v126, v102, v96
	;;#ASMEND
	;; [unrolled: 3-line block ×16, first 2 shown]
	ds_load_b128 v[97:100], v48 offset:20512
	ds_load_b128 v[101:104], v49 offset:160
	;; [unrolled: 1-line block ×8, first 2 shown]
	s_waitcnt lgkmcnt(6)
	;;#ASMSTART
	v_dot2_f32_f16 v87, v97, v101, v87
	;;#ASMEND
	;;#ASMSTART
	v_dot2_f32_f16 v87, v98, v102, v87
	;;#ASMEND
	;;#ASMSTART
	v_dot2_f32_f16 v87, v99, v103, v87
	;;#ASMEND
	;;#ASMSTART
	v_dot2_f32_f16 v87, v100, v104, v87
	;;#ASMEND
	s_waitcnt lgkmcnt(5)
	;;#ASMSTART
	v_dot2_f32_f16 v82, v97, v105, v82
	;;#ASMEND
	;;#ASMSTART
	v_dot2_f32_f16 v82, v98, v106, v82
	;;#ASMEND
	;;#ASMSTART
	v_dot2_f32_f16 v82, v99, v107, v82
	;;#ASMEND
	;;#ASMSTART
	v_dot2_f32_f16 v82, v100, v108, v82
	;;#ASMEND
	;; [unrolled: 13-line block ×5, first 2 shown]
	;;#ASMSTART
	v_dot2_f32_f16 v85, v117, v105, v85
	;;#ASMEND
	;;#ASMSTART
	v_dot2_f32_f16 v85, v118, v106, v85
	;;#ASMEND
	;; [unrolled: 3-line block ×12, first 2 shown]
	s_waitcnt lgkmcnt(1)
	;;#ASMSTART
	v_dot2_f32_f16 v92, v121, v101, v92
	;;#ASMEND
	;;#ASMSTART
	v_dot2_f32_f16 v92, v122, v102, v92
	;;#ASMEND
	;; [unrolled: 3-line block ×16, first 2 shown]
	s_waitcnt lgkmcnt(0)
	;;#ASMSTART
	v_dot2_f32_f16 v96, v125, v101, v96
	;;#ASMEND
	;;#ASMSTART
	v_dot2_f32_f16 v96, v126, v102, v96
	;;#ASMEND
	;; [unrolled: 3-line block ×16, first 2 shown]
	ds_load_b128 v[97:100], v48 offset:20528
	ds_load_b128 v[101:104], v49 offset:176
	;; [unrolled: 1-line block ×8, first 2 shown]
	s_waitcnt lgkmcnt(6)
	;;#ASMSTART
	v_dot2_f32_f16 v87, v97, v101, v87
	;;#ASMEND
	;;#ASMSTART
	v_dot2_f32_f16 v87, v98, v102, v87
	;;#ASMEND
	;;#ASMSTART
	v_dot2_f32_f16 v87, v99, v103, v87
	;;#ASMEND
	;;#ASMSTART
	v_dot2_f32_f16 v87, v100, v104, v87
	;;#ASMEND
	s_waitcnt lgkmcnt(5)
	;;#ASMSTART
	v_dot2_f32_f16 v82, v97, v105, v82
	;;#ASMEND
	;;#ASMSTART
	v_dot2_f32_f16 v82, v98, v106, v82
	;;#ASMEND
	;;#ASMSTART
	v_dot2_f32_f16 v82, v99, v107, v82
	;;#ASMEND
	;;#ASMSTART
	v_dot2_f32_f16 v82, v100, v108, v82
	;;#ASMEND
	;; [unrolled: 13-line block ×5, first 2 shown]
	;;#ASMSTART
	v_dot2_f32_f16 v85, v117, v105, v85
	;;#ASMEND
	;;#ASMSTART
	v_dot2_f32_f16 v85, v118, v106, v85
	;;#ASMEND
	;; [unrolled: 3-line block ×12, first 2 shown]
	s_waitcnt lgkmcnt(1)
	;;#ASMSTART
	v_dot2_f32_f16 v92, v121, v101, v92
	;;#ASMEND
	;;#ASMSTART
	v_dot2_f32_f16 v92, v122, v102, v92
	;;#ASMEND
	;; [unrolled: 3-line block ×16, first 2 shown]
	s_waitcnt lgkmcnt(0)
	;;#ASMSTART
	v_dot2_f32_f16 v96, v125, v101, v96
	;;#ASMEND
	;;#ASMSTART
	v_dot2_f32_f16 v96, v126, v102, v96
	;;#ASMEND
	;; [unrolled: 3-line block ×16, first 2 shown]
	ds_load_b128 v[97:100], v48 offset:20544
	ds_load_b128 v[101:104], v49 offset:192
	;; [unrolled: 1-line block ×8, first 2 shown]
	s_waitcnt lgkmcnt(6)
	;;#ASMSTART
	v_dot2_f32_f16 v87, v97, v101, v87
	;;#ASMEND
	;;#ASMSTART
	v_dot2_f32_f16 v87, v98, v102, v87
	;;#ASMEND
	;;#ASMSTART
	v_dot2_f32_f16 v87, v99, v103, v87
	;;#ASMEND
	;;#ASMSTART
	v_dot2_f32_f16 v87, v100, v104, v87
	;;#ASMEND
	s_waitcnt lgkmcnt(5)
	;;#ASMSTART
	v_dot2_f32_f16 v82, v97, v105, v82
	;;#ASMEND
	;;#ASMSTART
	v_dot2_f32_f16 v82, v98, v106, v82
	;;#ASMEND
	;;#ASMSTART
	v_dot2_f32_f16 v82, v99, v107, v82
	;;#ASMEND
	;;#ASMSTART
	v_dot2_f32_f16 v82, v100, v108, v82
	;;#ASMEND
	;; [unrolled: 13-line block ×5, first 2 shown]
	;;#ASMSTART
	v_dot2_f32_f16 v85, v117, v105, v85
	;;#ASMEND
	;;#ASMSTART
	v_dot2_f32_f16 v85, v118, v106, v85
	;;#ASMEND
	;; [unrolled: 3-line block ×12, first 2 shown]
	s_waitcnt lgkmcnt(1)
	;;#ASMSTART
	v_dot2_f32_f16 v92, v121, v101, v92
	;;#ASMEND
	;;#ASMSTART
	v_dot2_f32_f16 v92, v122, v102, v92
	;;#ASMEND
	;; [unrolled: 3-line block ×16, first 2 shown]
	s_waitcnt lgkmcnt(0)
	;;#ASMSTART
	v_dot2_f32_f16 v96, v125, v101, v96
	;;#ASMEND
	;;#ASMSTART
	v_dot2_f32_f16 v96, v126, v102, v96
	;;#ASMEND
	;;#ASMSTART
	v_dot2_f32_f16 v96, v127, v103, v96
	;;#ASMEND
	;;#ASMSTART
	v_dot2_f32_f16 v96, v128, v104, v96
	;;#ASMEND
	;;#ASMSTART
	v_dot2_f32_f16 v93, v125, v105, v93
	;;#ASMEND
	;;#ASMSTART
	v_dot2_f32_f16 v93, v126, v106, v93
	;;#ASMEND
	;;#ASMSTART
	v_dot2_f32_f16 v93, v127, v107, v93
	;;#ASMEND
	;;#ASMSTART
	v_dot2_f32_f16 v93, v128, v108, v93
	;;#ASMEND
	;;#ASMSTART
	v_dot2_f32_f16 v91, v125, v109, v91
	;;#ASMEND
	;;#ASMSTART
	v_dot2_f32_f16 v91, v126, v110, v91
	;;#ASMEND
	;;#ASMSTART
	v_dot2_f32_f16 v91, v127, v111, v91
	;;#ASMEND
	;;#ASMSTART
	v_dot2_f32_f16 v91, v128, v112, v91
	;;#ASMEND
	;;#ASMSTART
	v_dot2_f32_f16 v94, v125, v113, v94
	;;#ASMEND
	;;#ASMSTART
	v_dot2_f32_f16 v94, v126, v114, v94
	;;#ASMEND
	;;#ASMSTART
	v_dot2_f32_f16 v94, v127, v115, v94
	;;#ASMEND
	;;#ASMSTART
	v_dot2_f32_f16 v94, v128, v116, v94
	;;#ASMEND
	ds_load_b128 v[97:100], v48 offset:20560
	ds_load_b128 v[101:104], v49 offset:208
	;; [unrolled: 1-line block ×8, first 2 shown]
	s_waitcnt lgkmcnt(6)
	;;#ASMSTART
	v_dot2_f32_f16 v87, v97, v101, v87
	;;#ASMEND
	;;#ASMSTART
	v_dot2_f32_f16 v87, v98, v102, v87
	;;#ASMEND
	;;#ASMSTART
	v_dot2_f32_f16 v87, v99, v103, v87
	;;#ASMEND
	;;#ASMSTART
	v_dot2_f32_f16 v87, v100, v104, v87
	;;#ASMEND
	s_waitcnt lgkmcnt(5)
	;;#ASMSTART
	v_dot2_f32_f16 v82, v97, v105, v82
	;;#ASMEND
	;;#ASMSTART
	v_dot2_f32_f16 v82, v98, v106, v82
	;;#ASMEND
	;;#ASMSTART
	v_dot2_f32_f16 v82, v99, v107, v82
	;;#ASMEND
	;;#ASMSTART
	v_dot2_f32_f16 v82, v100, v108, v82
	;;#ASMEND
	;; [unrolled: 13-line block ×5, first 2 shown]
	;;#ASMSTART
	v_dot2_f32_f16 v85, v117, v105, v85
	;;#ASMEND
	;;#ASMSTART
	v_dot2_f32_f16 v85, v118, v106, v85
	;;#ASMEND
	;; [unrolled: 3-line block ×12, first 2 shown]
	s_waitcnt lgkmcnt(1)
	;;#ASMSTART
	v_dot2_f32_f16 v92, v121, v101, v92
	;;#ASMEND
	;;#ASMSTART
	v_dot2_f32_f16 v92, v122, v102, v92
	;;#ASMEND
	;; [unrolled: 3-line block ×16, first 2 shown]
	s_waitcnt lgkmcnt(0)
	;;#ASMSTART
	v_dot2_f32_f16 v96, v125, v101, v96
	;;#ASMEND
	;;#ASMSTART
	v_dot2_f32_f16 v96, v126, v102, v96
	;;#ASMEND
	;; [unrolled: 3-line block ×16, first 2 shown]
	ds_load_b128 v[97:100], v48 offset:20576
	ds_load_b128 v[101:104], v49 offset:224
	;; [unrolled: 1-line block ×8, first 2 shown]
	s_waitcnt lgkmcnt(6)
	;;#ASMSTART
	v_dot2_f32_f16 v87, v97, v101, v87
	;;#ASMEND
	;;#ASMSTART
	v_dot2_f32_f16 v87, v98, v102, v87
	;;#ASMEND
	;;#ASMSTART
	v_dot2_f32_f16 v87, v99, v103, v87
	;;#ASMEND
	;;#ASMSTART
	v_dot2_f32_f16 v87, v100, v104, v87
	;;#ASMEND
	s_waitcnt lgkmcnt(5)
	;;#ASMSTART
	v_dot2_f32_f16 v82, v97, v105, v82
	;;#ASMEND
	;;#ASMSTART
	v_dot2_f32_f16 v82, v98, v106, v82
	;;#ASMEND
	;;#ASMSTART
	v_dot2_f32_f16 v82, v99, v107, v82
	;;#ASMEND
	;;#ASMSTART
	v_dot2_f32_f16 v82, v100, v108, v82
	;;#ASMEND
	;; [unrolled: 13-line block ×5, first 2 shown]
	;;#ASMSTART
	v_dot2_f32_f16 v85, v117, v105, v85
	;;#ASMEND
	;;#ASMSTART
	v_dot2_f32_f16 v85, v118, v106, v85
	;;#ASMEND
	;;#ASMSTART
	v_dot2_f32_f16 v85, v119, v107, v85
	;;#ASMEND
	;;#ASMSTART
	v_dot2_f32_f16 v85, v120, v108, v85
	;;#ASMEND
	;;#ASMSTART
	v_dot2_f32_f16 v84, v117, v109, v84
	;;#ASMEND
	;;#ASMSTART
	v_dot2_f32_f16 v84, v118, v110, v84
	;;#ASMEND
	;;#ASMSTART
	v_dot2_f32_f16 v84, v119, v111, v84
	;;#ASMEND
	;;#ASMSTART
	v_dot2_f32_f16 v84, v120, v112, v84
	;;#ASMEND
	;;#ASMSTART
	v_dot2_f32_f16 v86, v117, v113, v86
	;;#ASMEND
	;;#ASMSTART
	v_dot2_f32_f16 v86, v118, v114, v86
	;;#ASMEND
	;;#ASMSTART
	v_dot2_f32_f16 v86, v119, v115, v86
	;;#ASMEND
	;;#ASMSTART
	v_dot2_f32_f16 v86, v120, v116, v86
	;;#ASMEND
	s_waitcnt lgkmcnt(1)
	;;#ASMSTART
	v_dot2_f32_f16 v92, v121, v101, v92
	;;#ASMEND
	;;#ASMSTART
	v_dot2_f32_f16 v92, v122, v102, v92
	;;#ASMEND
	;; [unrolled: 3-line block ×16, first 2 shown]
	s_waitcnt lgkmcnt(0)
	;;#ASMSTART
	v_dot2_f32_f16 v96, v125, v101, v96
	;;#ASMEND
	;;#ASMSTART
	v_dot2_f32_f16 v96, v126, v102, v96
	;;#ASMEND
	;; [unrolled: 3-line block ×16, first 2 shown]
	ds_load_b128 v[97:100], v48 offset:20592
	ds_load_b128 v[101:104], v49 offset:240
	;; [unrolled: 1-line block ×8, first 2 shown]
	s_waitcnt lgkmcnt(6)
	;;#ASMSTART
	v_dot2_f32_f16 v87, v97, v101, v87
	;;#ASMEND
	;;#ASMSTART
	v_dot2_f32_f16 v87, v98, v102, v87
	;;#ASMEND
	;;#ASMSTART
	v_dot2_f32_f16 v87, v99, v103, v87
	;;#ASMEND
	;;#ASMSTART
	v_dot2_f32_f16 v87, v100, v104, v87
	;;#ASMEND
	s_waitcnt lgkmcnt(5)
	;;#ASMSTART
	v_dot2_f32_f16 v82, v97, v105, v82
	;;#ASMEND
	;;#ASMSTART
	v_dot2_f32_f16 v82, v98, v106, v82
	;;#ASMEND
	;;#ASMSTART
	v_dot2_f32_f16 v82, v99, v107, v82
	;;#ASMEND
	;;#ASMSTART
	v_dot2_f32_f16 v82, v100, v108, v82
	;;#ASMEND
	;; [unrolled: 13-line block ×5, first 2 shown]
	;;#ASMSTART
	v_dot2_f32_f16 v85, v117, v105, v85
	;;#ASMEND
	;;#ASMSTART
	v_dot2_f32_f16 v85, v118, v106, v85
	;;#ASMEND
	;; [unrolled: 3-line block ×12, first 2 shown]
	s_waitcnt lgkmcnt(1)
	;;#ASMSTART
	v_dot2_f32_f16 v92, v121, v101, v92
	;;#ASMEND
	;;#ASMSTART
	v_dot2_f32_f16 v92, v122, v102, v92
	;;#ASMEND
	;; [unrolled: 3-line block ×16, first 2 shown]
	s_waitcnt lgkmcnt(0)
	;;#ASMSTART
	v_dot2_f32_f16 v96, v125, v101, v96
	;;#ASMEND
	;;#ASMSTART
	v_dot2_f32_f16 v96, v126, v102, v96
	;;#ASMEND
	;; [unrolled: 3-line block ×16, first 2 shown]
	s_barrier
	buffer_gl0_inv
	global_load_b128 v[97:100], v[8:9], off offset:256
	s_waitcnt vmcnt(0)
	ds_store_b128 v43, v[97:100]
	global_load_b128 v[97:100], v[4:5], off offset:256
	s_waitcnt vmcnt(0)
	ds_store_b128 v44, v[97:100]
	;; [unrolled: 3-line block ×4, first 2 shown]
	s_waitcnt lgkmcnt(0)
	s_barrier
	buffer_gl0_inv
	ds_load_b128 v[97:100], v48 offset:20480
	ds_load_b128 v[101:104], v49 offset:256
	;; [unrolled: 1-line block ×8, first 2 shown]
	s_waitcnt lgkmcnt(6)
	;;#ASMSTART
	v_dot2_f32_f16 v87, v97, v101, v87
	;;#ASMEND
	;;#ASMSTART
	v_dot2_f32_f16 v87, v98, v102, v87
	;;#ASMEND
	;;#ASMSTART
	v_dot2_f32_f16 v87, v99, v103, v87
	;;#ASMEND
	;;#ASMSTART
	v_dot2_f32_f16 v87, v100, v104, v87
	;;#ASMEND
	s_waitcnt lgkmcnt(5)
	;;#ASMSTART
	v_dot2_f32_f16 v82, v97, v105, v82
	;;#ASMEND
	;;#ASMSTART
	v_dot2_f32_f16 v82, v98, v106, v82
	;;#ASMEND
	;;#ASMSTART
	v_dot2_f32_f16 v82, v99, v107, v82
	;;#ASMEND
	;;#ASMSTART
	v_dot2_f32_f16 v82, v100, v108, v82
	;;#ASMEND
	;; [unrolled: 13-line block ×5, first 2 shown]
	;;#ASMSTART
	v_dot2_f32_f16 v85, v117, v105, v85
	;;#ASMEND
	;;#ASMSTART
	v_dot2_f32_f16 v85, v118, v106, v85
	;;#ASMEND
	;; [unrolled: 3-line block ×12, first 2 shown]
	s_waitcnt lgkmcnt(1)
	;;#ASMSTART
	v_dot2_f32_f16 v92, v121, v101, v92
	;;#ASMEND
	;;#ASMSTART
	v_dot2_f32_f16 v92, v122, v102, v92
	;;#ASMEND
	;; [unrolled: 3-line block ×16, first 2 shown]
	s_waitcnt lgkmcnt(0)
	;;#ASMSTART
	v_dot2_f32_f16 v96, v125, v101, v96
	;;#ASMEND
	;;#ASMSTART
	v_dot2_f32_f16 v96, v126, v102, v96
	;;#ASMEND
	;; [unrolled: 3-line block ×16, first 2 shown]
	ds_load_b128 v[97:100], v48 offset:20496
	ds_load_b128 v[101:104], v49 offset:272
	;; [unrolled: 1-line block ×8, first 2 shown]
	s_waitcnt lgkmcnt(6)
	;;#ASMSTART
	v_dot2_f32_f16 v87, v97, v101, v87
	;;#ASMEND
	;;#ASMSTART
	v_dot2_f32_f16 v87, v98, v102, v87
	;;#ASMEND
	;;#ASMSTART
	v_dot2_f32_f16 v87, v99, v103, v87
	;;#ASMEND
	;;#ASMSTART
	v_dot2_f32_f16 v87, v100, v104, v87
	;;#ASMEND
	s_waitcnt lgkmcnt(5)
	;;#ASMSTART
	v_dot2_f32_f16 v82, v97, v105, v82
	;;#ASMEND
	;;#ASMSTART
	v_dot2_f32_f16 v82, v98, v106, v82
	;;#ASMEND
	;;#ASMSTART
	v_dot2_f32_f16 v82, v99, v107, v82
	;;#ASMEND
	;;#ASMSTART
	v_dot2_f32_f16 v82, v100, v108, v82
	;;#ASMEND
	;; [unrolled: 13-line block ×5, first 2 shown]
	;;#ASMSTART
	v_dot2_f32_f16 v85, v117, v105, v85
	;;#ASMEND
	;;#ASMSTART
	v_dot2_f32_f16 v85, v118, v106, v85
	;;#ASMEND
	;;#ASMSTART
	v_dot2_f32_f16 v85, v119, v107, v85
	;;#ASMEND
	;;#ASMSTART
	v_dot2_f32_f16 v85, v120, v108, v85
	;;#ASMEND
	;;#ASMSTART
	v_dot2_f32_f16 v84, v117, v109, v84
	;;#ASMEND
	;;#ASMSTART
	v_dot2_f32_f16 v84, v118, v110, v84
	;;#ASMEND
	;;#ASMSTART
	v_dot2_f32_f16 v84, v119, v111, v84
	;;#ASMEND
	;;#ASMSTART
	v_dot2_f32_f16 v84, v120, v112, v84
	;;#ASMEND
	;;#ASMSTART
	v_dot2_f32_f16 v86, v117, v113, v86
	;;#ASMEND
	;;#ASMSTART
	v_dot2_f32_f16 v86, v118, v114, v86
	;;#ASMEND
	;;#ASMSTART
	v_dot2_f32_f16 v86, v119, v115, v86
	;;#ASMEND
	;;#ASMSTART
	v_dot2_f32_f16 v86, v120, v116, v86
	;;#ASMEND
	s_waitcnt lgkmcnt(1)
	;;#ASMSTART
	v_dot2_f32_f16 v92, v121, v101, v92
	;;#ASMEND
	;;#ASMSTART
	v_dot2_f32_f16 v92, v122, v102, v92
	;;#ASMEND
	;; [unrolled: 3-line block ×16, first 2 shown]
	s_waitcnt lgkmcnt(0)
	;;#ASMSTART
	v_dot2_f32_f16 v96, v125, v101, v96
	;;#ASMEND
	;;#ASMSTART
	v_dot2_f32_f16 v96, v126, v102, v96
	;;#ASMEND
	;; [unrolled: 3-line block ×16, first 2 shown]
	ds_load_b128 v[97:100], v48 offset:20512
	ds_load_b128 v[101:104], v49 offset:288
	;; [unrolled: 1-line block ×8, first 2 shown]
	s_waitcnt lgkmcnt(6)
	;;#ASMSTART
	v_dot2_f32_f16 v87, v97, v101, v87
	;;#ASMEND
	;;#ASMSTART
	v_dot2_f32_f16 v87, v98, v102, v87
	;;#ASMEND
	;;#ASMSTART
	v_dot2_f32_f16 v87, v99, v103, v87
	;;#ASMEND
	;;#ASMSTART
	v_dot2_f32_f16 v87, v100, v104, v87
	;;#ASMEND
	s_waitcnt lgkmcnt(5)
	;;#ASMSTART
	v_dot2_f32_f16 v82, v97, v105, v82
	;;#ASMEND
	;;#ASMSTART
	v_dot2_f32_f16 v82, v98, v106, v82
	;;#ASMEND
	;;#ASMSTART
	v_dot2_f32_f16 v82, v99, v107, v82
	;;#ASMEND
	;;#ASMSTART
	v_dot2_f32_f16 v82, v100, v108, v82
	;;#ASMEND
	;; [unrolled: 13-line block ×5, first 2 shown]
	;;#ASMSTART
	v_dot2_f32_f16 v85, v117, v105, v85
	;;#ASMEND
	;;#ASMSTART
	v_dot2_f32_f16 v85, v118, v106, v85
	;;#ASMEND
	;; [unrolled: 3-line block ×12, first 2 shown]
	s_waitcnt lgkmcnt(1)
	;;#ASMSTART
	v_dot2_f32_f16 v92, v121, v101, v92
	;;#ASMEND
	;;#ASMSTART
	v_dot2_f32_f16 v92, v122, v102, v92
	;;#ASMEND
	;;#ASMSTART
	v_dot2_f32_f16 v92, v123, v103, v92
	;;#ASMEND
	;;#ASMSTART
	v_dot2_f32_f16 v92, v124, v104, v92
	;;#ASMEND
	;;#ASMSTART
	v_dot2_f32_f16 v89, v121, v105, v89
	;;#ASMEND
	;;#ASMSTART
	v_dot2_f32_f16 v89, v122, v106, v89
	;;#ASMEND
	;;#ASMSTART
	v_dot2_f32_f16 v89, v123, v107, v89
	;;#ASMEND
	;;#ASMSTART
	v_dot2_f32_f16 v89, v124, v108, v89
	;;#ASMEND
	;;#ASMSTART
	v_dot2_f32_f16 v88, v121, v109, v88
	;;#ASMEND
	;;#ASMSTART
	v_dot2_f32_f16 v88, v122, v110, v88
	;;#ASMEND
	;;#ASMSTART
	v_dot2_f32_f16 v88, v123, v111, v88
	;;#ASMEND
	;;#ASMSTART
	v_dot2_f32_f16 v88, v124, v112, v88
	;;#ASMEND
	;;#ASMSTART
	v_dot2_f32_f16 v90, v121, v113, v90
	;;#ASMEND
	;;#ASMSTART
	v_dot2_f32_f16 v90, v122, v114, v90
	;;#ASMEND
	;;#ASMSTART
	v_dot2_f32_f16 v90, v123, v115, v90
	;;#ASMEND
	;;#ASMSTART
	v_dot2_f32_f16 v90, v124, v116, v90
	;;#ASMEND
	s_waitcnt lgkmcnt(0)
	;;#ASMSTART
	v_dot2_f32_f16 v96, v125, v101, v96
	;;#ASMEND
	;;#ASMSTART
	v_dot2_f32_f16 v96, v126, v102, v96
	;;#ASMEND
	;; [unrolled: 3-line block ×16, first 2 shown]
	ds_load_b128 v[97:100], v48 offset:20528
	ds_load_b128 v[101:104], v49 offset:304
	;; [unrolled: 1-line block ×8, first 2 shown]
	s_waitcnt lgkmcnt(6)
	;;#ASMSTART
	v_dot2_f32_f16 v87, v97, v101, v87
	;;#ASMEND
	;;#ASMSTART
	v_dot2_f32_f16 v87, v98, v102, v87
	;;#ASMEND
	;;#ASMSTART
	v_dot2_f32_f16 v87, v99, v103, v87
	;;#ASMEND
	;;#ASMSTART
	v_dot2_f32_f16 v87, v100, v104, v87
	;;#ASMEND
	s_waitcnt lgkmcnt(5)
	;;#ASMSTART
	v_dot2_f32_f16 v82, v97, v105, v82
	;;#ASMEND
	;;#ASMSTART
	v_dot2_f32_f16 v82, v98, v106, v82
	;;#ASMEND
	;;#ASMSTART
	v_dot2_f32_f16 v82, v99, v107, v82
	;;#ASMEND
	;;#ASMSTART
	v_dot2_f32_f16 v82, v100, v108, v82
	;;#ASMEND
	;; [unrolled: 13-line block ×5, first 2 shown]
	;;#ASMSTART
	v_dot2_f32_f16 v85, v117, v105, v85
	;;#ASMEND
	;;#ASMSTART
	v_dot2_f32_f16 v85, v118, v106, v85
	;;#ASMEND
	;; [unrolled: 3-line block ×12, first 2 shown]
	s_waitcnt lgkmcnt(1)
	;;#ASMSTART
	v_dot2_f32_f16 v92, v121, v101, v92
	;;#ASMEND
	;;#ASMSTART
	v_dot2_f32_f16 v92, v122, v102, v92
	;;#ASMEND
	;; [unrolled: 3-line block ×16, first 2 shown]
	s_waitcnt lgkmcnt(0)
	;;#ASMSTART
	v_dot2_f32_f16 v96, v125, v101, v96
	;;#ASMEND
	;;#ASMSTART
	v_dot2_f32_f16 v96, v126, v102, v96
	;;#ASMEND
	;; [unrolled: 3-line block ×16, first 2 shown]
	ds_load_b128 v[97:100], v48 offset:20544
	ds_load_b128 v[101:104], v49 offset:320
	;; [unrolled: 1-line block ×8, first 2 shown]
	s_waitcnt lgkmcnt(6)
	;;#ASMSTART
	v_dot2_f32_f16 v87, v97, v101, v87
	;;#ASMEND
	;;#ASMSTART
	v_dot2_f32_f16 v87, v98, v102, v87
	;;#ASMEND
	;;#ASMSTART
	v_dot2_f32_f16 v87, v99, v103, v87
	;;#ASMEND
	;;#ASMSTART
	v_dot2_f32_f16 v87, v100, v104, v87
	;;#ASMEND
	s_waitcnt lgkmcnt(5)
	;;#ASMSTART
	v_dot2_f32_f16 v82, v97, v105, v82
	;;#ASMEND
	;;#ASMSTART
	v_dot2_f32_f16 v82, v98, v106, v82
	;;#ASMEND
	;;#ASMSTART
	v_dot2_f32_f16 v82, v99, v107, v82
	;;#ASMEND
	;;#ASMSTART
	v_dot2_f32_f16 v82, v100, v108, v82
	;;#ASMEND
	;; [unrolled: 13-line block ×5, first 2 shown]
	;;#ASMSTART
	v_dot2_f32_f16 v85, v117, v105, v85
	;;#ASMEND
	;;#ASMSTART
	v_dot2_f32_f16 v85, v118, v106, v85
	;;#ASMEND
	;;#ASMSTART
	v_dot2_f32_f16 v85, v119, v107, v85
	;;#ASMEND
	;;#ASMSTART
	v_dot2_f32_f16 v85, v120, v108, v85
	;;#ASMEND
	;;#ASMSTART
	v_dot2_f32_f16 v84, v117, v109, v84
	;;#ASMEND
	;;#ASMSTART
	v_dot2_f32_f16 v84, v118, v110, v84
	;;#ASMEND
	;;#ASMSTART
	v_dot2_f32_f16 v84, v119, v111, v84
	;;#ASMEND
	;;#ASMSTART
	v_dot2_f32_f16 v84, v120, v112, v84
	;;#ASMEND
	;;#ASMSTART
	v_dot2_f32_f16 v86, v117, v113, v86
	;;#ASMEND
	;;#ASMSTART
	v_dot2_f32_f16 v86, v118, v114, v86
	;;#ASMEND
	;;#ASMSTART
	v_dot2_f32_f16 v86, v119, v115, v86
	;;#ASMEND
	;;#ASMSTART
	v_dot2_f32_f16 v86, v120, v116, v86
	;;#ASMEND
	s_waitcnt lgkmcnt(1)
	;;#ASMSTART
	v_dot2_f32_f16 v92, v121, v101, v92
	;;#ASMEND
	;;#ASMSTART
	v_dot2_f32_f16 v92, v122, v102, v92
	;;#ASMEND
	;; [unrolled: 3-line block ×16, first 2 shown]
	s_waitcnt lgkmcnt(0)
	;;#ASMSTART
	v_dot2_f32_f16 v96, v125, v101, v96
	;;#ASMEND
	;;#ASMSTART
	v_dot2_f32_f16 v96, v126, v102, v96
	;;#ASMEND
	;;#ASMSTART
	v_dot2_f32_f16 v96, v127, v103, v96
	;;#ASMEND
	;;#ASMSTART
	v_dot2_f32_f16 v96, v128, v104, v96
	;;#ASMEND
	;;#ASMSTART
	v_dot2_f32_f16 v93, v125, v105, v93
	;;#ASMEND
	;;#ASMSTART
	v_dot2_f32_f16 v93, v126, v106, v93
	;;#ASMEND
	;;#ASMSTART
	v_dot2_f32_f16 v93, v127, v107, v93
	;;#ASMEND
	;;#ASMSTART
	v_dot2_f32_f16 v93, v128, v108, v93
	;;#ASMEND
	;;#ASMSTART
	v_dot2_f32_f16 v91, v125, v109, v91
	;;#ASMEND
	;;#ASMSTART
	v_dot2_f32_f16 v91, v126, v110, v91
	;;#ASMEND
	;;#ASMSTART
	v_dot2_f32_f16 v91, v127, v111, v91
	;;#ASMEND
	;;#ASMSTART
	v_dot2_f32_f16 v91, v128, v112, v91
	;;#ASMEND
	;;#ASMSTART
	v_dot2_f32_f16 v94, v125, v113, v94
	;;#ASMEND
	;;#ASMSTART
	v_dot2_f32_f16 v94, v126, v114, v94
	;;#ASMEND
	;;#ASMSTART
	v_dot2_f32_f16 v94, v127, v115, v94
	;;#ASMEND
	;;#ASMSTART
	v_dot2_f32_f16 v94, v128, v116, v94
	;;#ASMEND
	ds_load_b128 v[97:100], v48 offset:20560
	ds_load_b128 v[101:104], v49 offset:336
	;; [unrolled: 1-line block ×8, first 2 shown]
	s_waitcnt lgkmcnt(6)
	;;#ASMSTART
	v_dot2_f32_f16 v87, v97, v101, v87
	;;#ASMEND
	;;#ASMSTART
	v_dot2_f32_f16 v87, v98, v102, v87
	;;#ASMEND
	;;#ASMSTART
	v_dot2_f32_f16 v87, v99, v103, v87
	;;#ASMEND
	;;#ASMSTART
	v_dot2_f32_f16 v87, v100, v104, v87
	;;#ASMEND
	s_waitcnt lgkmcnt(5)
	;;#ASMSTART
	v_dot2_f32_f16 v82, v97, v105, v82
	;;#ASMEND
	;;#ASMSTART
	v_dot2_f32_f16 v82, v98, v106, v82
	;;#ASMEND
	;;#ASMSTART
	v_dot2_f32_f16 v82, v99, v107, v82
	;;#ASMEND
	;;#ASMSTART
	v_dot2_f32_f16 v82, v100, v108, v82
	;;#ASMEND
	;; [unrolled: 13-line block ×5, first 2 shown]
	;;#ASMSTART
	v_dot2_f32_f16 v85, v117, v105, v85
	;;#ASMEND
	;;#ASMSTART
	v_dot2_f32_f16 v85, v118, v106, v85
	;;#ASMEND
	;; [unrolled: 3-line block ×12, first 2 shown]
	s_waitcnt lgkmcnt(1)
	;;#ASMSTART
	v_dot2_f32_f16 v92, v121, v101, v92
	;;#ASMEND
	;;#ASMSTART
	v_dot2_f32_f16 v92, v122, v102, v92
	;;#ASMEND
	;; [unrolled: 3-line block ×16, first 2 shown]
	s_waitcnt lgkmcnt(0)
	;;#ASMSTART
	v_dot2_f32_f16 v96, v125, v101, v96
	;;#ASMEND
	;;#ASMSTART
	v_dot2_f32_f16 v96, v126, v102, v96
	;;#ASMEND
	;; [unrolled: 3-line block ×16, first 2 shown]
	ds_load_b128 v[97:100], v48 offset:20576
	ds_load_b128 v[101:104], v49 offset:352
	;; [unrolled: 1-line block ×8, first 2 shown]
	s_waitcnt lgkmcnt(6)
	;;#ASMSTART
	v_dot2_f32_f16 v87, v97, v101, v87
	;;#ASMEND
	;;#ASMSTART
	v_dot2_f32_f16 v87, v98, v102, v87
	;;#ASMEND
	;;#ASMSTART
	v_dot2_f32_f16 v87, v99, v103, v87
	;;#ASMEND
	;;#ASMSTART
	v_dot2_f32_f16 v87, v100, v104, v87
	;;#ASMEND
	s_waitcnt lgkmcnt(5)
	;;#ASMSTART
	v_dot2_f32_f16 v82, v97, v105, v82
	;;#ASMEND
	;;#ASMSTART
	v_dot2_f32_f16 v82, v98, v106, v82
	;;#ASMEND
	;;#ASMSTART
	v_dot2_f32_f16 v82, v99, v107, v82
	;;#ASMEND
	;;#ASMSTART
	v_dot2_f32_f16 v82, v100, v108, v82
	;;#ASMEND
	;; [unrolled: 13-line block ×5, first 2 shown]
	;;#ASMSTART
	v_dot2_f32_f16 v85, v117, v105, v85
	;;#ASMEND
	;;#ASMSTART
	v_dot2_f32_f16 v85, v118, v106, v85
	;;#ASMEND
	;; [unrolled: 3-line block ×12, first 2 shown]
	s_waitcnt lgkmcnt(1)
	;;#ASMSTART
	v_dot2_f32_f16 v92, v121, v101, v92
	;;#ASMEND
	;;#ASMSTART
	v_dot2_f32_f16 v92, v122, v102, v92
	;;#ASMEND
	;; [unrolled: 3-line block ×16, first 2 shown]
	s_waitcnt lgkmcnt(0)
	;;#ASMSTART
	v_dot2_f32_f16 v96, v125, v101, v96
	;;#ASMEND
	;;#ASMSTART
	v_dot2_f32_f16 v96, v126, v102, v96
	;;#ASMEND
	;; [unrolled: 3-line block ×16, first 2 shown]
	ds_load_b128 v[97:100], v48 offset:20592
	ds_load_b128 v[101:104], v49 offset:368
	;; [unrolled: 1-line block ×8, first 2 shown]
	s_waitcnt lgkmcnt(6)
	;;#ASMSTART
	v_dot2_f32_f16 v87, v97, v101, v87
	;;#ASMEND
	;;#ASMSTART
	v_dot2_f32_f16 v87, v98, v102, v87
	;;#ASMEND
	;;#ASMSTART
	v_dot2_f32_f16 v87, v99, v103, v87
	;;#ASMEND
	;;#ASMSTART
	v_dot2_f32_f16 v87, v100, v104, v87
	;;#ASMEND
	s_waitcnt lgkmcnt(5)
	;;#ASMSTART
	v_dot2_f32_f16 v82, v97, v105, v82
	;;#ASMEND
	;;#ASMSTART
	v_dot2_f32_f16 v82, v98, v106, v82
	;;#ASMEND
	;;#ASMSTART
	v_dot2_f32_f16 v82, v99, v107, v82
	;;#ASMEND
	;;#ASMSTART
	v_dot2_f32_f16 v82, v100, v108, v82
	;;#ASMEND
	;; [unrolled: 13-line block ×5, first 2 shown]
	;;#ASMSTART
	v_dot2_f32_f16 v85, v117, v105, v85
	;;#ASMEND
	;;#ASMSTART
	v_dot2_f32_f16 v85, v118, v106, v85
	;;#ASMEND
	;; [unrolled: 3-line block ×12, first 2 shown]
	s_waitcnt lgkmcnt(1)
	;;#ASMSTART
	v_dot2_f32_f16 v92, v121, v101, v92
	;;#ASMEND
	;;#ASMSTART
	v_dot2_f32_f16 v92, v122, v102, v92
	;;#ASMEND
	;;#ASMSTART
	v_dot2_f32_f16 v92, v123, v103, v92
	;;#ASMEND
	;;#ASMSTART
	v_dot2_f32_f16 v92, v124, v104, v92
	;;#ASMEND
	;;#ASMSTART
	v_dot2_f32_f16 v89, v121, v105, v89
	;;#ASMEND
	;;#ASMSTART
	v_dot2_f32_f16 v89, v122, v106, v89
	;;#ASMEND
	;;#ASMSTART
	v_dot2_f32_f16 v89, v123, v107, v89
	;;#ASMEND
	;;#ASMSTART
	v_dot2_f32_f16 v89, v124, v108, v89
	;;#ASMEND
	;;#ASMSTART
	v_dot2_f32_f16 v88, v121, v109, v88
	;;#ASMEND
	;;#ASMSTART
	v_dot2_f32_f16 v88, v122, v110, v88
	;;#ASMEND
	;;#ASMSTART
	v_dot2_f32_f16 v88, v123, v111, v88
	;;#ASMEND
	;;#ASMSTART
	v_dot2_f32_f16 v88, v124, v112, v88
	;;#ASMEND
	;;#ASMSTART
	v_dot2_f32_f16 v90, v121, v113, v90
	;;#ASMEND
	;;#ASMSTART
	v_dot2_f32_f16 v90, v122, v114, v90
	;;#ASMEND
	;;#ASMSTART
	v_dot2_f32_f16 v90, v123, v115, v90
	;;#ASMEND
	;;#ASMSTART
	v_dot2_f32_f16 v90, v124, v116, v90
	;;#ASMEND
	s_waitcnt lgkmcnt(0)
	;;#ASMSTART
	v_dot2_f32_f16 v96, v125, v101, v96
	;;#ASMEND
	;;#ASMSTART
	v_dot2_f32_f16 v96, v126, v102, v96
	;;#ASMEND
	;; [unrolled: 3-line block ×16, first 2 shown]
	s_barrier
	buffer_gl0_inv
	global_load_b128 v[97:100], v[8:9], off offset:384
	s_waitcnt vmcnt(0)
	ds_store_b128 v43, v[97:100]
	global_load_b128 v[97:100], v[4:5], off offset:384
	s_waitcnt vmcnt(0)
	ds_store_b128 v44, v[97:100]
	;; [unrolled: 3-line block ×4, first 2 shown]
	s_waitcnt lgkmcnt(0)
	s_barrier
	buffer_gl0_inv
	ds_load_b128 v[97:100], v48 offset:20480
	ds_load_b128 v[101:104], v49 offset:384
	;; [unrolled: 1-line block ×8, first 2 shown]
	s_waitcnt lgkmcnt(6)
	;;#ASMSTART
	v_dot2_f32_f16 v87, v97, v101, v87
	;;#ASMEND
	;;#ASMSTART
	v_dot2_f32_f16 v87, v98, v102, v87
	;;#ASMEND
	;;#ASMSTART
	v_dot2_f32_f16 v87, v99, v103, v87
	;;#ASMEND
	;;#ASMSTART
	v_dot2_f32_f16 v87, v100, v104, v87
	;;#ASMEND
	s_waitcnt lgkmcnt(5)
	;;#ASMSTART
	v_dot2_f32_f16 v82, v97, v105, v82
	;;#ASMEND
	;;#ASMSTART
	v_dot2_f32_f16 v82, v98, v106, v82
	;;#ASMEND
	;;#ASMSTART
	v_dot2_f32_f16 v82, v99, v107, v82
	;;#ASMEND
	;;#ASMSTART
	v_dot2_f32_f16 v82, v100, v108, v82
	;;#ASMEND
	;; [unrolled: 13-line block ×5, first 2 shown]
	;;#ASMSTART
	v_dot2_f32_f16 v85, v117, v105, v85
	;;#ASMEND
	;;#ASMSTART
	v_dot2_f32_f16 v85, v118, v106, v85
	;;#ASMEND
	;; [unrolled: 3-line block ×12, first 2 shown]
	s_waitcnt lgkmcnt(1)
	;;#ASMSTART
	v_dot2_f32_f16 v92, v121, v101, v92
	;;#ASMEND
	;;#ASMSTART
	v_dot2_f32_f16 v92, v122, v102, v92
	;;#ASMEND
	;; [unrolled: 3-line block ×16, first 2 shown]
	s_waitcnt lgkmcnt(0)
	;;#ASMSTART
	v_dot2_f32_f16 v96, v125, v101, v96
	;;#ASMEND
	;;#ASMSTART
	v_dot2_f32_f16 v96, v126, v102, v96
	;;#ASMEND
	;; [unrolled: 3-line block ×16, first 2 shown]
	ds_load_b128 v[97:100], v48 offset:20496
	ds_load_b128 v[101:104], v49 offset:400
	;; [unrolled: 1-line block ×8, first 2 shown]
	s_waitcnt lgkmcnt(6)
	;;#ASMSTART
	v_dot2_f32_f16 v87, v97, v101, v87
	;;#ASMEND
	;;#ASMSTART
	v_dot2_f32_f16 v87, v98, v102, v87
	;;#ASMEND
	;;#ASMSTART
	v_dot2_f32_f16 v87, v99, v103, v87
	;;#ASMEND
	;;#ASMSTART
	v_dot2_f32_f16 v87, v100, v104, v87
	;;#ASMEND
	s_waitcnt lgkmcnt(5)
	;;#ASMSTART
	v_dot2_f32_f16 v82, v97, v105, v82
	;;#ASMEND
	;;#ASMSTART
	v_dot2_f32_f16 v82, v98, v106, v82
	;;#ASMEND
	;;#ASMSTART
	v_dot2_f32_f16 v82, v99, v107, v82
	;;#ASMEND
	;;#ASMSTART
	v_dot2_f32_f16 v82, v100, v108, v82
	;;#ASMEND
	;; [unrolled: 13-line block ×5, first 2 shown]
	;;#ASMSTART
	v_dot2_f32_f16 v85, v117, v105, v85
	;;#ASMEND
	;;#ASMSTART
	v_dot2_f32_f16 v85, v118, v106, v85
	;;#ASMEND
	;; [unrolled: 3-line block ×12, first 2 shown]
	s_waitcnt lgkmcnt(1)
	;;#ASMSTART
	v_dot2_f32_f16 v92, v121, v101, v92
	;;#ASMEND
	;;#ASMSTART
	v_dot2_f32_f16 v92, v122, v102, v92
	;;#ASMEND
	;;#ASMSTART
	v_dot2_f32_f16 v92, v123, v103, v92
	;;#ASMEND
	;;#ASMSTART
	v_dot2_f32_f16 v92, v124, v104, v92
	;;#ASMEND
	;;#ASMSTART
	v_dot2_f32_f16 v89, v121, v105, v89
	;;#ASMEND
	;;#ASMSTART
	v_dot2_f32_f16 v89, v122, v106, v89
	;;#ASMEND
	;;#ASMSTART
	v_dot2_f32_f16 v89, v123, v107, v89
	;;#ASMEND
	;;#ASMSTART
	v_dot2_f32_f16 v89, v124, v108, v89
	;;#ASMEND
	;;#ASMSTART
	v_dot2_f32_f16 v88, v121, v109, v88
	;;#ASMEND
	;;#ASMSTART
	v_dot2_f32_f16 v88, v122, v110, v88
	;;#ASMEND
	;;#ASMSTART
	v_dot2_f32_f16 v88, v123, v111, v88
	;;#ASMEND
	;;#ASMSTART
	v_dot2_f32_f16 v88, v124, v112, v88
	;;#ASMEND
	;;#ASMSTART
	v_dot2_f32_f16 v90, v121, v113, v90
	;;#ASMEND
	;;#ASMSTART
	v_dot2_f32_f16 v90, v122, v114, v90
	;;#ASMEND
	;;#ASMSTART
	v_dot2_f32_f16 v90, v123, v115, v90
	;;#ASMEND
	;;#ASMSTART
	v_dot2_f32_f16 v90, v124, v116, v90
	;;#ASMEND
	s_waitcnt lgkmcnt(0)
	;;#ASMSTART
	v_dot2_f32_f16 v96, v125, v101, v96
	;;#ASMEND
	;;#ASMSTART
	v_dot2_f32_f16 v96, v126, v102, v96
	;;#ASMEND
	;; [unrolled: 3-line block ×16, first 2 shown]
	ds_load_b128 v[97:100], v48 offset:20512
	ds_load_b128 v[101:104], v49 offset:416
	;; [unrolled: 1-line block ×8, first 2 shown]
	s_waitcnt lgkmcnt(6)
	;;#ASMSTART
	v_dot2_f32_f16 v87, v97, v101, v87
	;;#ASMEND
	;;#ASMSTART
	v_dot2_f32_f16 v87, v98, v102, v87
	;;#ASMEND
	;;#ASMSTART
	v_dot2_f32_f16 v87, v99, v103, v87
	;;#ASMEND
	;;#ASMSTART
	v_dot2_f32_f16 v87, v100, v104, v87
	;;#ASMEND
	s_waitcnt lgkmcnt(5)
	;;#ASMSTART
	v_dot2_f32_f16 v82, v97, v105, v82
	;;#ASMEND
	;;#ASMSTART
	v_dot2_f32_f16 v82, v98, v106, v82
	;;#ASMEND
	;;#ASMSTART
	v_dot2_f32_f16 v82, v99, v107, v82
	;;#ASMEND
	;;#ASMSTART
	v_dot2_f32_f16 v82, v100, v108, v82
	;;#ASMEND
	;; [unrolled: 13-line block ×5, first 2 shown]
	;;#ASMSTART
	v_dot2_f32_f16 v85, v117, v105, v85
	;;#ASMEND
	;;#ASMSTART
	v_dot2_f32_f16 v85, v118, v106, v85
	;;#ASMEND
	;; [unrolled: 3-line block ×12, first 2 shown]
	s_waitcnt lgkmcnt(1)
	;;#ASMSTART
	v_dot2_f32_f16 v92, v121, v101, v92
	;;#ASMEND
	;;#ASMSTART
	v_dot2_f32_f16 v92, v122, v102, v92
	;;#ASMEND
	;;#ASMSTART
	v_dot2_f32_f16 v92, v123, v103, v92
	;;#ASMEND
	;;#ASMSTART
	v_dot2_f32_f16 v92, v124, v104, v92
	;;#ASMEND
	;;#ASMSTART
	v_dot2_f32_f16 v89, v121, v105, v89
	;;#ASMEND
	;;#ASMSTART
	v_dot2_f32_f16 v89, v122, v106, v89
	;;#ASMEND
	;;#ASMSTART
	v_dot2_f32_f16 v89, v123, v107, v89
	;;#ASMEND
	;;#ASMSTART
	v_dot2_f32_f16 v89, v124, v108, v89
	;;#ASMEND
	;;#ASMSTART
	v_dot2_f32_f16 v88, v121, v109, v88
	;;#ASMEND
	;;#ASMSTART
	v_dot2_f32_f16 v88, v122, v110, v88
	;;#ASMEND
	;;#ASMSTART
	v_dot2_f32_f16 v88, v123, v111, v88
	;;#ASMEND
	;;#ASMSTART
	v_dot2_f32_f16 v88, v124, v112, v88
	;;#ASMEND
	;;#ASMSTART
	v_dot2_f32_f16 v90, v121, v113, v90
	;;#ASMEND
	;;#ASMSTART
	v_dot2_f32_f16 v90, v122, v114, v90
	;;#ASMEND
	;;#ASMSTART
	v_dot2_f32_f16 v90, v123, v115, v90
	;;#ASMEND
	;;#ASMSTART
	v_dot2_f32_f16 v90, v124, v116, v90
	;;#ASMEND
	s_waitcnt lgkmcnt(0)
	;;#ASMSTART
	v_dot2_f32_f16 v96, v125, v101, v96
	;;#ASMEND
	;;#ASMSTART
	v_dot2_f32_f16 v96, v126, v102, v96
	;;#ASMEND
	;; [unrolled: 3-line block ×16, first 2 shown]
	ds_load_b128 v[97:100], v48 offset:20528
	ds_load_b128 v[101:104], v49 offset:432
	;; [unrolled: 1-line block ×8, first 2 shown]
	s_waitcnt lgkmcnt(6)
	;;#ASMSTART
	v_dot2_f32_f16 v87, v97, v101, v87
	;;#ASMEND
	;;#ASMSTART
	v_dot2_f32_f16 v87, v98, v102, v87
	;;#ASMEND
	;;#ASMSTART
	v_dot2_f32_f16 v87, v99, v103, v87
	;;#ASMEND
	;;#ASMSTART
	v_dot2_f32_f16 v87, v100, v104, v87
	;;#ASMEND
	s_waitcnt lgkmcnt(5)
	;;#ASMSTART
	v_dot2_f32_f16 v82, v97, v105, v82
	;;#ASMEND
	;;#ASMSTART
	v_dot2_f32_f16 v82, v98, v106, v82
	;;#ASMEND
	;;#ASMSTART
	v_dot2_f32_f16 v82, v99, v107, v82
	;;#ASMEND
	;;#ASMSTART
	v_dot2_f32_f16 v82, v100, v108, v82
	;;#ASMEND
	;; [unrolled: 13-line block ×5, first 2 shown]
	;;#ASMSTART
	v_dot2_f32_f16 v85, v117, v105, v85
	;;#ASMEND
	;;#ASMSTART
	v_dot2_f32_f16 v85, v118, v106, v85
	;;#ASMEND
	;; [unrolled: 3-line block ×12, first 2 shown]
	s_waitcnt lgkmcnt(1)
	;;#ASMSTART
	v_dot2_f32_f16 v92, v121, v101, v92
	;;#ASMEND
	;;#ASMSTART
	v_dot2_f32_f16 v92, v122, v102, v92
	;;#ASMEND
	;; [unrolled: 3-line block ×16, first 2 shown]
	s_waitcnt lgkmcnt(0)
	;;#ASMSTART
	v_dot2_f32_f16 v96, v125, v101, v96
	;;#ASMEND
	;;#ASMSTART
	v_dot2_f32_f16 v96, v126, v102, v96
	;;#ASMEND
	;; [unrolled: 3-line block ×16, first 2 shown]
	ds_load_b128 v[97:100], v48 offset:20544
	ds_load_b128 v[101:104], v49 offset:448
	;; [unrolled: 1-line block ×8, first 2 shown]
	s_waitcnt lgkmcnt(6)
	;;#ASMSTART
	v_dot2_f32_f16 v87, v97, v101, v87
	;;#ASMEND
	;;#ASMSTART
	v_dot2_f32_f16 v87, v98, v102, v87
	;;#ASMEND
	;;#ASMSTART
	v_dot2_f32_f16 v87, v99, v103, v87
	;;#ASMEND
	;;#ASMSTART
	v_dot2_f32_f16 v87, v100, v104, v87
	;;#ASMEND
	s_waitcnt lgkmcnt(5)
	;;#ASMSTART
	v_dot2_f32_f16 v82, v97, v105, v82
	;;#ASMEND
	;;#ASMSTART
	v_dot2_f32_f16 v82, v98, v106, v82
	;;#ASMEND
	;;#ASMSTART
	v_dot2_f32_f16 v82, v99, v107, v82
	;;#ASMEND
	;;#ASMSTART
	v_dot2_f32_f16 v82, v100, v108, v82
	;;#ASMEND
	;; [unrolled: 13-line block ×5, first 2 shown]
	;;#ASMSTART
	v_dot2_f32_f16 v85, v117, v105, v85
	;;#ASMEND
	;;#ASMSTART
	v_dot2_f32_f16 v85, v118, v106, v85
	;;#ASMEND
	;; [unrolled: 3-line block ×12, first 2 shown]
	s_waitcnt lgkmcnt(1)
	;;#ASMSTART
	v_dot2_f32_f16 v92, v121, v101, v92
	;;#ASMEND
	;;#ASMSTART
	v_dot2_f32_f16 v92, v122, v102, v92
	;;#ASMEND
	;; [unrolled: 3-line block ×16, first 2 shown]
	s_waitcnt lgkmcnt(0)
	;;#ASMSTART
	v_dot2_f32_f16 v96, v125, v101, v96
	;;#ASMEND
	;;#ASMSTART
	v_dot2_f32_f16 v96, v126, v102, v96
	;;#ASMEND
	;; [unrolled: 3-line block ×16, first 2 shown]
	ds_load_b128 v[97:100], v48 offset:20560
	ds_load_b128 v[101:104], v49 offset:464
	;; [unrolled: 1-line block ×8, first 2 shown]
	s_waitcnt lgkmcnt(6)
	;;#ASMSTART
	v_dot2_f32_f16 v87, v97, v101, v87
	;;#ASMEND
	;;#ASMSTART
	v_dot2_f32_f16 v87, v98, v102, v87
	;;#ASMEND
	;;#ASMSTART
	v_dot2_f32_f16 v87, v99, v103, v87
	;;#ASMEND
	;;#ASMSTART
	v_dot2_f32_f16 v87, v100, v104, v87
	;;#ASMEND
	s_waitcnt lgkmcnt(5)
	;;#ASMSTART
	v_dot2_f32_f16 v82, v97, v105, v82
	;;#ASMEND
	;;#ASMSTART
	v_dot2_f32_f16 v82, v98, v106, v82
	;;#ASMEND
	;;#ASMSTART
	v_dot2_f32_f16 v82, v99, v107, v82
	;;#ASMEND
	;;#ASMSTART
	v_dot2_f32_f16 v82, v100, v108, v82
	;;#ASMEND
	;; [unrolled: 13-line block ×5, first 2 shown]
	;;#ASMSTART
	v_dot2_f32_f16 v85, v117, v105, v85
	;;#ASMEND
	;;#ASMSTART
	v_dot2_f32_f16 v85, v118, v106, v85
	;;#ASMEND
	;; [unrolled: 3-line block ×12, first 2 shown]
	s_waitcnt lgkmcnt(1)
	;;#ASMSTART
	v_dot2_f32_f16 v92, v121, v101, v92
	;;#ASMEND
	;;#ASMSTART
	v_dot2_f32_f16 v92, v122, v102, v92
	;;#ASMEND
	;; [unrolled: 3-line block ×16, first 2 shown]
	s_waitcnt lgkmcnt(0)
	;;#ASMSTART
	v_dot2_f32_f16 v96, v125, v101, v96
	;;#ASMEND
	;;#ASMSTART
	v_dot2_f32_f16 v96, v126, v102, v96
	;;#ASMEND
	;; [unrolled: 3-line block ×16, first 2 shown]
	ds_load_b128 v[97:100], v48 offset:20576
	ds_load_b128 v[101:104], v49 offset:480
	;; [unrolled: 1-line block ×8, first 2 shown]
	s_waitcnt lgkmcnt(6)
	;;#ASMSTART
	v_dot2_f32_f16 v87, v97, v101, v87
	;;#ASMEND
	;;#ASMSTART
	v_dot2_f32_f16 v87, v98, v102, v87
	;;#ASMEND
	;;#ASMSTART
	v_dot2_f32_f16 v87, v99, v103, v87
	;;#ASMEND
	;;#ASMSTART
	v_dot2_f32_f16 v87, v100, v104, v87
	;;#ASMEND
	s_waitcnt lgkmcnt(5)
	;;#ASMSTART
	v_dot2_f32_f16 v82, v97, v105, v82
	;;#ASMEND
	;;#ASMSTART
	v_dot2_f32_f16 v82, v98, v106, v82
	;;#ASMEND
	;;#ASMSTART
	v_dot2_f32_f16 v82, v99, v107, v82
	;;#ASMEND
	;;#ASMSTART
	v_dot2_f32_f16 v82, v100, v108, v82
	;;#ASMEND
	;; [unrolled: 13-line block ×5, first 2 shown]
	;;#ASMSTART
	v_dot2_f32_f16 v85, v117, v105, v85
	;;#ASMEND
	;;#ASMSTART
	v_dot2_f32_f16 v85, v118, v106, v85
	;;#ASMEND
	;; [unrolled: 3-line block ×12, first 2 shown]
	s_waitcnt lgkmcnt(1)
	;;#ASMSTART
	v_dot2_f32_f16 v92, v121, v101, v92
	;;#ASMEND
	;;#ASMSTART
	v_dot2_f32_f16 v92, v122, v102, v92
	;;#ASMEND
	;;#ASMSTART
	v_dot2_f32_f16 v92, v123, v103, v92
	;;#ASMEND
	;;#ASMSTART
	v_dot2_f32_f16 v92, v124, v104, v92
	;;#ASMEND
	;;#ASMSTART
	v_dot2_f32_f16 v89, v121, v105, v89
	;;#ASMEND
	;;#ASMSTART
	v_dot2_f32_f16 v89, v122, v106, v89
	;;#ASMEND
	;;#ASMSTART
	v_dot2_f32_f16 v89, v123, v107, v89
	;;#ASMEND
	;;#ASMSTART
	v_dot2_f32_f16 v89, v124, v108, v89
	;;#ASMEND
	;;#ASMSTART
	v_dot2_f32_f16 v88, v121, v109, v88
	;;#ASMEND
	;;#ASMSTART
	v_dot2_f32_f16 v88, v122, v110, v88
	;;#ASMEND
	;;#ASMSTART
	v_dot2_f32_f16 v88, v123, v111, v88
	;;#ASMEND
	;;#ASMSTART
	v_dot2_f32_f16 v88, v124, v112, v88
	;;#ASMEND
	;;#ASMSTART
	v_dot2_f32_f16 v90, v121, v113, v90
	;;#ASMEND
	;;#ASMSTART
	v_dot2_f32_f16 v90, v122, v114, v90
	;;#ASMEND
	;;#ASMSTART
	v_dot2_f32_f16 v90, v123, v115, v90
	;;#ASMEND
	;;#ASMSTART
	v_dot2_f32_f16 v90, v124, v116, v90
	;;#ASMEND
	s_waitcnt lgkmcnt(0)
	;;#ASMSTART
	v_dot2_f32_f16 v96, v125, v101, v96
	;;#ASMEND
	;;#ASMSTART
	v_dot2_f32_f16 v96, v126, v102, v96
	;;#ASMEND
	;; [unrolled: 3-line block ×16, first 2 shown]
	ds_load_b128 v[97:100], v48 offset:20592
	ds_load_b128 v[101:104], v49 offset:496
	;; [unrolled: 1-line block ×8, first 2 shown]
	s_waitcnt lgkmcnt(6)
	;;#ASMSTART
	v_dot2_f32_f16 v87, v97, v101, v87
	;;#ASMEND
	;;#ASMSTART
	v_dot2_f32_f16 v87, v98, v102, v87
	;;#ASMEND
	;;#ASMSTART
	v_dot2_f32_f16 v87, v99, v103, v87
	;;#ASMEND
	;;#ASMSTART
	v_dot2_f32_f16 v87, v100, v104, v87
	;;#ASMEND
	s_waitcnt lgkmcnt(5)
	;;#ASMSTART
	v_dot2_f32_f16 v82, v97, v105, v82
	;;#ASMEND
	;;#ASMSTART
	v_dot2_f32_f16 v82, v98, v106, v82
	;;#ASMEND
	;;#ASMSTART
	v_dot2_f32_f16 v82, v99, v107, v82
	;;#ASMEND
	;;#ASMSTART
	v_dot2_f32_f16 v82, v100, v108, v82
	;;#ASMEND
	;; [unrolled: 13-line block ×5, first 2 shown]
	;;#ASMSTART
	v_dot2_f32_f16 v85, v117, v105, v85
	;;#ASMEND
	;;#ASMSTART
	v_dot2_f32_f16 v85, v118, v106, v85
	;;#ASMEND
	;; [unrolled: 3-line block ×12, first 2 shown]
	s_waitcnt lgkmcnt(1)
	;;#ASMSTART
	v_dot2_f32_f16 v92, v121, v101, v92
	;;#ASMEND
	;;#ASMSTART
	v_dot2_f32_f16 v92, v122, v102, v92
	;;#ASMEND
	;; [unrolled: 3-line block ×16, first 2 shown]
	s_waitcnt lgkmcnt(0)
	;;#ASMSTART
	v_dot2_f32_f16 v96, v125, v101, v96
	;;#ASMEND
	;;#ASMSTART
	v_dot2_f32_f16 v96, v126, v102, v96
	;;#ASMEND
	;; [unrolled: 3-line block ×16, first 2 shown]
	s_barrier
	buffer_gl0_inv
	global_load_b128 v[97:100], v[8:9], off offset:512
	s_waitcnt vmcnt(0)
	ds_store_b128 v43, v[97:100]
	s_clause 0x1
	global_load_b128 v[97:100], v[4:5], off offset:512
	global_load_b128 v[4:7], v[6:7], off offset:512
	s_waitcnt vmcnt(1)
	ds_store_b128 v44, v[97:100]
	s_waitcnt vmcnt(0)
	ds_store_b128 v45, v[4:7]
	global_load_b128 v[4:7], v[10:11], off offset:512
	s_waitcnt vmcnt(0)
	ds_store_b128 v46, v[4:7]
	s_waitcnt lgkmcnt(0)
	s_barrier
	buffer_gl0_inv
	ds_load_b128 v[4:7], v48 offset:20480
	ds_load_b128 v[8:11], v49 offset:512
	;; [unrolled: 1-line block ×8, first 2 shown]
	s_waitcnt lgkmcnt(6)
	;;#ASMSTART
	v_dot2_f32_f16 v87, v4, v8, v87
	;;#ASMEND
	;;#ASMSTART
	v_dot2_f32_f16 v87, v5, v9, v87
	;;#ASMEND
	;;#ASMSTART
	v_dot2_f32_f16 v87, v6, v10, v87
	;;#ASMEND
	;;#ASMSTART
	v_dot2_f32_f16 v87, v7, v11, v87
	;;#ASMEND
	s_waitcnt lgkmcnt(5)
	;;#ASMSTART
	v_dot2_f32_f16 v82, v4, v97, v82
	;;#ASMEND
	;;#ASMSTART
	v_dot2_f32_f16 v82, v5, v98, v82
	;;#ASMEND
	;;#ASMSTART
	v_dot2_f32_f16 v82, v6, v99, v82
	;;#ASMEND
	;;#ASMSTART
	v_dot2_f32_f16 v82, v7, v100, v82
	;;#ASMEND
	;; [unrolled: 13-line block ×5, first 2 shown]
	;;#ASMSTART
	v_dot2_f32_f16 v85, v109, v97, v85
	;;#ASMEND
	;;#ASMSTART
	v_dot2_f32_f16 v85, v110, v98, v85
	;;#ASMEND
	;; [unrolled: 3-line block ×12, first 2 shown]
	s_waitcnt lgkmcnt(1)
	;;#ASMSTART
	v_dot2_f32_f16 v92, v113, v8, v92
	;;#ASMEND
	;;#ASMSTART
	v_dot2_f32_f16 v92, v114, v9, v92
	;;#ASMEND
	;; [unrolled: 3-line block ×16, first 2 shown]
	s_waitcnt lgkmcnt(0)
	;;#ASMSTART
	v_dot2_f32_f16 v96, v117, v8, v96
	;;#ASMEND
	;;#ASMSTART
	v_dot2_f32_f16 v96, v118, v9, v96
	;;#ASMEND
	;; [unrolled: 3-line block ×16, first 2 shown]
	ds_load_b128 v[4:7], v48 offset:20496
	ds_load_b128 v[8:11], v49 offset:528
	;; [unrolled: 1-line block ×8, first 2 shown]
	s_waitcnt lgkmcnt(6)
	;;#ASMSTART
	v_dot2_f32_f16 v87, v4, v8, v87
	;;#ASMEND
	;;#ASMSTART
	v_dot2_f32_f16 v87, v5, v9, v87
	;;#ASMEND
	;;#ASMSTART
	v_dot2_f32_f16 v87, v6, v10, v87
	;;#ASMEND
	;;#ASMSTART
	v_dot2_f32_f16 v87, v7, v11, v87
	;;#ASMEND
	s_waitcnt lgkmcnt(5)
	;;#ASMSTART
	v_dot2_f32_f16 v82, v4, v97, v82
	;;#ASMEND
	;;#ASMSTART
	v_dot2_f32_f16 v82, v5, v98, v82
	;;#ASMEND
	;;#ASMSTART
	v_dot2_f32_f16 v82, v6, v99, v82
	;;#ASMEND
	;;#ASMSTART
	v_dot2_f32_f16 v82, v7, v100, v82
	;;#ASMEND
	;; [unrolled: 13-line block ×5, first 2 shown]
	;;#ASMSTART
	v_dot2_f32_f16 v85, v109, v97, v85
	;;#ASMEND
	;;#ASMSTART
	v_dot2_f32_f16 v85, v110, v98, v85
	;;#ASMEND
	;; [unrolled: 3-line block ×12, first 2 shown]
	s_waitcnt lgkmcnt(1)
	;;#ASMSTART
	v_dot2_f32_f16 v92, v113, v8, v92
	;;#ASMEND
	;;#ASMSTART
	v_dot2_f32_f16 v92, v114, v9, v92
	;;#ASMEND
	;; [unrolled: 3-line block ×16, first 2 shown]
	s_waitcnt lgkmcnt(0)
	;;#ASMSTART
	v_dot2_f32_f16 v96, v117, v8, v96
	;;#ASMEND
	;;#ASMSTART
	v_dot2_f32_f16 v96, v118, v9, v96
	;;#ASMEND
	;; [unrolled: 3-line block ×16, first 2 shown]
	ds_load_b128 v[4:7], v48 offset:20512
	ds_load_b128 v[8:11], v49 offset:544
	ds_load_b128 v[97:100], v49 offset:1184
	ds_load_b128 v[101:104], v49 offset:1824
	ds_load_b128 v[105:108], v49 offset:2464
	ds_load_b128 v[109:112], v48 offset:25120
	ds_load_b128 v[113:116], v48 offset:29728
	ds_load_b128 v[117:120], v48 offset:34336
	s_waitcnt lgkmcnt(6)
	;;#ASMSTART
	v_dot2_f32_f16 v87, v4, v8, v87
	;;#ASMEND
	;;#ASMSTART
	v_dot2_f32_f16 v87, v5, v9, v87
	;;#ASMEND
	;;#ASMSTART
	v_dot2_f32_f16 v87, v6, v10, v87
	;;#ASMEND
	;;#ASMSTART
	v_dot2_f32_f16 v87, v7, v11, v87
	;;#ASMEND
	s_waitcnt lgkmcnt(5)
	;;#ASMSTART
	v_dot2_f32_f16 v82, v4, v97, v82
	;;#ASMEND
	;;#ASMSTART
	v_dot2_f32_f16 v82, v5, v98, v82
	;;#ASMEND
	;;#ASMSTART
	v_dot2_f32_f16 v82, v6, v99, v82
	;;#ASMEND
	;;#ASMSTART
	v_dot2_f32_f16 v82, v7, v100, v82
	;;#ASMEND
	s_waitcnt lgkmcnt(4)
	;;#ASMSTART
	v_dot2_f32_f16 v81, v4, v101, v81
	;;#ASMEND
	;;#ASMSTART
	v_dot2_f32_f16 v81, v5, v102, v81
	;;#ASMEND
	;;#ASMSTART
	v_dot2_f32_f16 v81, v6, v103, v81
	;;#ASMEND
	;;#ASMSTART
	v_dot2_f32_f16 v81, v7, v104, v81
	;;#ASMEND
	s_waitcnt lgkmcnt(3)
	;;#ASMSTART
	v_dot2_f32_f16 v83, v4, v105, v83
	;;#ASMEND
	;;#ASMSTART
	v_dot2_f32_f16 v83, v5, v106, v83
	;;#ASMEND
	;;#ASMSTART
	v_dot2_f32_f16 v83, v6, v107, v83
	;;#ASMEND
	;;#ASMSTART
	v_dot2_f32_f16 v83, v7, v108, v83
	;;#ASMEND
	s_waitcnt lgkmcnt(2)
	;;#ASMSTART
	v_dot2_f32_f16 v95, v109, v8, v95
	;;#ASMEND
	;;#ASMSTART
	v_dot2_f32_f16 v95, v110, v9, v95
	;;#ASMEND
	;;#ASMSTART
	v_dot2_f32_f16 v95, v111, v10, v95
	;;#ASMEND
	;;#ASMSTART
	v_dot2_f32_f16 v95, v112, v11, v95
	;;#ASMEND
	;;#ASMSTART
	v_dot2_f32_f16 v85, v109, v97, v85
	;;#ASMEND
	;;#ASMSTART
	v_dot2_f32_f16 v85, v110, v98, v85
	;;#ASMEND
	;; [unrolled: 3-line block ×12, first 2 shown]
	s_waitcnt lgkmcnt(1)
	;;#ASMSTART
	v_dot2_f32_f16 v92, v113, v8, v92
	;;#ASMEND
	;;#ASMSTART
	v_dot2_f32_f16 v92, v114, v9, v92
	;;#ASMEND
	;; [unrolled: 3-line block ×16, first 2 shown]
	s_waitcnt lgkmcnt(0)
	;;#ASMSTART
	v_dot2_f32_f16 v96, v117, v8, v96
	;;#ASMEND
	;;#ASMSTART
	v_dot2_f32_f16 v96, v118, v9, v96
	;;#ASMEND
	;; [unrolled: 3-line block ×16, first 2 shown]
	ds_load_b128 v[4:7], v48 offset:20528
	ds_load_b128 v[8:11], v49 offset:560
	;; [unrolled: 1-line block ×8, first 2 shown]
	s_waitcnt lgkmcnt(6)
	;;#ASMSTART
	v_dot2_f32_f16 v87, v4, v8, v87
	;;#ASMEND
	;;#ASMSTART
	v_dot2_f32_f16 v87, v5, v9, v87
	;;#ASMEND
	;;#ASMSTART
	v_dot2_f32_f16 v87, v6, v10, v87
	;;#ASMEND
	;;#ASMSTART
	v_dot2_f32_f16 v87, v7, v11, v87
	;;#ASMEND
	s_waitcnt lgkmcnt(5)
	;;#ASMSTART
	v_dot2_f32_f16 v82, v4, v97, v82
	;;#ASMEND
	;;#ASMSTART
	v_dot2_f32_f16 v82, v5, v98, v82
	;;#ASMEND
	;;#ASMSTART
	v_dot2_f32_f16 v82, v6, v99, v82
	;;#ASMEND
	;;#ASMSTART
	v_dot2_f32_f16 v82, v7, v100, v82
	;;#ASMEND
	;; [unrolled: 13-line block ×5, first 2 shown]
	;;#ASMSTART
	v_dot2_f32_f16 v85, v109, v97, v85
	;;#ASMEND
	;;#ASMSTART
	v_dot2_f32_f16 v85, v110, v98, v85
	;;#ASMEND
	;; [unrolled: 3-line block ×12, first 2 shown]
	s_waitcnt lgkmcnt(1)
	;;#ASMSTART
	v_dot2_f32_f16 v92, v113, v8, v92
	;;#ASMEND
	;;#ASMSTART
	v_dot2_f32_f16 v92, v114, v9, v92
	;;#ASMEND
	;; [unrolled: 3-line block ×16, first 2 shown]
	s_waitcnt lgkmcnt(0)
	;;#ASMSTART
	v_dot2_f32_f16 v96, v117, v8, v96
	;;#ASMEND
	;;#ASMSTART
	v_dot2_f32_f16 v96, v118, v9, v96
	;;#ASMEND
	;; [unrolled: 3-line block ×16, first 2 shown]
	ds_load_b128 v[4:7], v48 offset:20544
	ds_load_b128 v[8:11], v49 offset:576
	;; [unrolled: 1-line block ×8, first 2 shown]
	s_waitcnt lgkmcnt(6)
	;;#ASMSTART
	v_dot2_f32_f16 v87, v4, v8, v87
	;;#ASMEND
	;;#ASMSTART
	v_dot2_f32_f16 v87, v5, v9, v87
	;;#ASMEND
	;;#ASMSTART
	v_dot2_f32_f16 v87, v6, v10, v87
	;;#ASMEND
	;;#ASMSTART
	v_dot2_f32_f16 v87, v7, v11, v87
	;;#ASMEND
	s_waitcnt lgkmcnt(5)
	;;#ASMSTART
	v_dot2_f32_f16 v82, v4, v97, v82
	;;#ASMEND
	;;#ASMSTART
	v_dot2_f32_f16 v82, v5, v98, v82
	;;#ASMEND
	;;#ASMSTART
	v_dot2_f32_f16 v82, v6, v99, v82
	;;#ASMEND
	;;#ASMSTART
	v_dot2_f32_f16 v82, v7, v100, v82
	;;#ASMEND
	;; [unrolled: 13-line block ×5, first 2 shown]
	;;#ASMSTART
	v_dot2_f32_f16 v85, v109, v97, v85
	;;#ASMEND
	;;#ASMSTART
	v_dot2_f32_f16 v85, v110, v98, v85
	;;#ASMEND
	;; [unrolled: 3-line block ×12, first 2 shown]
	s_waitcnt lgkmcnt(1)
	;;#ASMSTART
	v_dot2_f32_f16 v92, v113, v8, v92
	;;#ASMEND
	;;#ASMSTART
	v_dot2_f32_f16 v92, v114, v9, v92
	;;#ASMEND
	;;#ASMSTART
	v_dot2_f32_f16 v92, v115, v10, v92
	;;#ASMEND
	;;#ASMSTART
	v_dot2_f32_f16 v92, v116, v11, v92
	;;#ASMEND
	;;#ASMSTART
	v_dot2_f32_f16 v89, v113, v97, v89
	;;#ASMEND
	;;#ASMSTART
	v_dot2_f32_f16 v89, v114, v98, v89
	;;#ASMEND
	;;#ASMSTART
	v_dot2_f32_f16 v89, v115, v99, v89
	;;#ASMEND
	;;#ASMSTART
	v_dot2_f32_f16 v89, v116, v100, v89
	;;#ASMEND
	;;#ASMSTART
	v_dot2_f32_f16 v88, v113, v101, v88
	;;#ASMEND
	;;#ASMSTART
	v_dot2_f32_f16 v88, v114, v102, v88
	;;#ASMEND
	;;#ASMSTART
	v_dot2_f32_f16 v88, v115, v103, v88
	;;#ASMEND
	;;#ASMSTART
	v_dot2_f32_f16 v88, v116, v104, v88
	;;#ASMEND
	;;#ASMSTART
	v_dot2_f32_f16 v90, v113, v105, v90
	;;#ASMEND
	;;#ASMSTART
	v_dot2_f32_f16 v90, v114, v106, v90
	;;#ASMEND
	;;#ASMSTART
	v_dot2_f32_f16 v90, v115, v107, v90
	;;#ASMEND
	;;#ASMSTART
	v_dot2_f32_f16 v90, v116, v108, v90
	;;#ASMEND
	s_waitcnt lgkmcnt(0)
	;;#ASMSTART
	v_dot2_f32_f16 v96, v117, v8, v96
	;;#ASMEND
	;;#ASMSTART
	v_dot2_f32_f16 v96, v118, v9, v96
	;;#ASMEND
	;; [unrolled: 3-line block ×16, first 2 shown]
	ds_load_b128 v[4:7], v48 offset:20560
	ds_load_b128 v[8:11], v49 offset:592
	;; [unrolled: 1-line block ×8, first 2 shown]
	s_waitcnt lgkmcnt(6)
	;;#ASMSTART
	v_dot2_f32_f16 v87, v4, v8, v87
	;;#ASMEND
	;;#ASMSTART
	v_dot2_f32_f16 v87, v5, v9, v87
	;;#ASMEND
	;;#ASMSTART
	v_dot2_f32_f16 v87, v6, v10, v87
	;;#ASMEND
	;;#ASMSTART
	v_dot2_f32_f16 v87, v7, v11, v87
	;;#ASMEND
	s_waitcnt lgkmcnt(5)
	;;#ASMSTART
	v_dot2_f32_f16 v82, v4, v97, v82
	;;#ASMEND
	;;#ASMSTART
	v_dot2_f32_f16 v82, v5, v98, v82
	;;#ASMEND
	;;#ASMSTART
	v_dot2_f32_f16 v82, v6, v99, v82
	;;#ASMEND
	;;#ASMSTART
	v_dot2_f32_f16 v82, v7, v100, v82
	;;#ASMEND
	;; [unrolled: 13-line block ×5, first 2 shown]
	;;#ASMSTART
	v_dot2_f32_f16 v85, v109, v97, v85
	;;#ASMEND
	;;#ASMSTART
	v_dot2_f32_f16 v85, v110, v98, v85
	;;#ASMEND
	;; [unrolled: 3-line block ×12, first 2 shown]
	s_waitcnt lgkmcnt(1)
	;;#ASMSTART
	v_dot2_f32_f16 v92, v113, v8, v92
	;;#ASMEND
	;;#ASMSTART
	v_dot2_f32_f16 v92, v114, v9, v92
	;;#ASMEND
	;;#ASMSTART
	v_dot2_f32_f16 v92, v115, v10, v92
	;;#ASMEND
	;;#ASMSTART
	v_dot2_f32_f16 v92, v116, v11, v92
	;;#ASMEND
	;;#ASMSTART
	v_dot2_f32_f16 v89, v113, v97, v89
	;;#ASMEND
	;;#ASMSTART
	v_dot2_f32_f16 v89, v114, v98, v89
	;;#ASMEND
	;;#ASMSTART
	v_dot2_f32_f16 v89, v115, v99, v89
	;;#ASMEND
	;;#ASMSTART
	v_dot2_f32_f16 v89, v116, v100, v89
	;;#ASMEND
	;;#ASMSTART
	v_dot2_f32_f16 v88, v113, v101, v88
	;;#ASMEND
	;;#ASMSTART
	v_dot2_f32_f16 v88, v114, v102, v88
	;;#ASMEND
	;;#ASMSTART
	v_dot2_f32_f16 v88, v115, v103, v88
	;;#ASMEND
	;;#ASMSTART
	v_dot2_f32_f16 v88, v116, v104, v88
	;;#ASMEND
	;;#ASMSTART
	v_dot2_f32_f16 v90, v113, v105, v90
	;;#ASMEND
	;;#ASMSTART
	v_dot2_f32_f16 v90, v114, v106, v90
	;;#ASMEND
	;;#ASMSTART
	v_dot2_f32_f16 v90, v115, v107, v90
	;;#ASMEND
	;;#ASMSTART
	v_dot2_f32_f16 v90, v116, v108, v90
	;;#ASMEND
	s_waitcnt lgkmcnt(0)
	;;#ASMSTART
	v_dot2_f32_f16 v96, v117, v8, v96
	;;#ASMEND
	;;#ASMSTART
	v_dot2_f32_f16 v96, v118, v9, v96
	;;#ASMEND
	;; [unrolled: 3-line block ×16, first 2 shown]
	ds_load_b128 v[4:7], v48 offset:20576
	ds_load_b128 v[8:11], v49 offset:608
	;; [unrolled: 1-line block ×8, first 2 shown]
	s_waitcnt lgkmcnt(6)
	;;#ASMSTART
	v_dot2_f32_f16 v87, v4, v8, v87
	;;#ASMEND
	;;#ASMSTART
	v_dot2_f32_f16 v87, v5, v9, v87
	;;#ASMEND
	;;#ASMSTART
	v_dot2_f32_f16 v87, v6, v10, v87
	;;#ASMEND
	;;#ASMSTART
	v_dot2_f32_f16 v87, v7, v11, v87
	;;#ASMEND
	s_waitcnt lgkmcnt(5)
	;;#ASMSTART
	v_dot2_f32_f16 v82, v4, v97, v82
	;;#ASMEND
	;;#ASMSTART
	v_dot2_f32_f16 v82, v5, v98, v82
	;;#ASMEND
	;;#ASMSTART
	v_dot2_f32_f16 v82, v6, v99, v82
	;;#ASMEND
	;;#ASMSTART
	v_dot2_f32_f16 v82, v7, v100, v82
	;;#ASMEND
	;; [unrolled: 13-line block ×5, first 2 shown]
	;;#ASMSTART
	v_dot2_f32_f16 v85, v109, v97, v85
	;;#ASMEND
	;;#ASMSTART
	v_dot2_f32_f16 v85, v110, v98, v85
	;;#ASMEND
	;; [unrolled: 3-line block ×12, first 2 shown]
	s_waitcnt lgkmcnt(1)
	;;#ASMSTART
	v_dot2_f32_f16 v92, v113, v8, v92
	;;#ASMEND
	;;#ASMSTART
	v_dot2_f32_f16 v92, v114, v9, v92
	;;#ASMEND
	;; [unrolled: 3-line block ×16, first 2 shown]
	s_waitcnt lgkmcnt(0)
	;;#ASMSTART
	v_dot2_f32_f16 v96, v117, v8, v96
	;;#ASMEND
	;;#ASMSTART
	v_dot2_f32_f16 v96, v118, v9, v96
	;;#ASMEND
	;;#ASMSTART
	v_dot2_f32_f16 v96, v119, v10, v96
	;;#ASMEND
	;;#ASMSTART
	v_dot2_f32_f16 v96, v120, v11, v96
	;;#ASMEND
	;;#ASMSTART
	v_dot2_f32_f16 v93, v117, v97, v93
	;;#ASMEND
	;;#ASMSTART
	v_dot2_f32_f16 v93, v118, v98, v93
	;;#ASMEND
	;;#ASMSTART
	v_dot2_f32_f16 v93, v119, v99, v93
	;;#ASMEND
	;;#ASMSTART
	v_dot2_f32_f16 v93, v120, v100, v93
	;;#ASMEND
	;;#ASMSTART
	v_dot2_f32_f16 v91, v117, v101, v91
	;;#ASMEND
	;;#ASMSTART
	v_dot2_f32_f16 v91, v118, v102, v91
	;;#ASMEND
	;;#ASMSTART
	v_dot2_f32_f16 v91, v119, v103, v91
	;;#ASMEND
	;;#ASMSTART
	v_dot2_f32_f16 v91, v120, v104, v91
	;;#ASMEND
	;;#ASMSTART
	v_dot2_f32_f16 v94, v117, v105, v94
	;;#ASMEND
	;;#ASMSTART
	v_dot2_f32_f16 v94, v118, v106, v94
	;;#ASMEND
	;;#ASMSTART
	v_dot2_f32_f16 v94, v119, v107, v94
	;;#ASMEND
	;;#ASMSTART
	v_dot2_f32_f16 v94, v120, v108, v94
	;;#ASMEND
	ds_load_b128 v[4:7], v48 offset:20592
	ds_load_b128 v[8:11], v49 offset:624
	;; [unrolled: 1-line block ×8, first 2 shown]
	s_waitcnt lgkmcnt(6)
	;;#ASMSTART
	v_dot2_f32_f16 v87, v4, v8, v87
	;;#ASMEND
	;;#ASMSTART
	v_dot2_f32_f16 v87, v5, v9, v87
	;;#ASMEND
	;;#ASMSTART
	v_dot2_f32_f16 v87, v6, v10, v87
	;;#ASMEND
	;;#ASMSTART
	v_dot2_f32_f16 v87, v7, v11, v87
	;;#ASMEND
	s_waitcnt lgkmcnt(5)
	;;#ASMSTART
	v_dot2_f32_f16 v82, v4, v97, v82
	;;#ASMEND
	;;#ASMSTART
	v_dot2_f32_f16 v82, v5, v98, v82
	;;#ASMEND
	;;#ASMSTART
	v_dot2_f32_f16 v82, v6, v99, v82
	;;#ASMEND
	;;#ASMSTART
	v_dot2_f32_f16 v82, v7, v100, v82
	;;#ASMEND
	;; [unrolled: 13-line block ×5, first 2 shown]
	;;#ASMSTART
	v_dot2_f32_f16 v85, v109, v97, v85
	;;#ASMEND
	;;#ASMSTART
	v_dot2_f32_f16 v85, v110, v98, v85
	;;#ASMEND
	;;#ASMSTART
	v_dot2_f32_f16 v85, v111, v99, v85
	;;#ASMEND
	v_add_nc_u32_e32 v4, s9, v14
	;;#ASMSTART
	v_dot2_f32_f16 v85, v112, v100, v85
	;;#ASMEND
	;;#ASMSTART
	v_dot2_f32_f16 v84, v109, v101, v84
	;;#ASMEND
	;; [unrolled: 3-line block ×7, first 2 shown]
	v_ashrrev_i32_e32 v5, 31, v4
	;;#ASMSTART
	v_dot2_f32_f16 v86, v111, v107, v86
	;;#ASMEND
	;;#ASMSTART
	v_dot2_f32_f16 v86, v112, v108, v86
	;;#ASMEND
	s_waitcnt lgkmcnt(1)
	;;#ASMSTART
	v_dot2_f32_f16 v92, v113, v8, v92
	;;#ASMEND
	;;#ASMSTART
	v_dot2_f32_f16 v92, v114, v9, v92
	;;#ASMEND
	;;#ASMSTART
	v_dot2_f32_f16 v92, v115, v10, v92
	;;#ASMEND
	;;#ASMSTART
	v_dot2_f32_f16 v92, v116, v11, v92
	;;#ASMEND
	;;#ASMSTART
	v_dot2_f32_f16 v89, v113, v97, v89
	;;#ASMEND
	v_lshlrev_b64 v[4:5], 1, v[4:5]
	;;#ASMSTART
	v_dot2_f32_f16 v89, v114, v98, v89
	;;#ASMEND
	;;#ASMSTART
	v_dot2_f32_f16 v89, v115, v99, v89
	;;#ASMEND
	;; [unrolled: 3-line block ×8, first 2 shown]
	v_add_co_u32 v4, vcc_lo, s36, v4
	;;#ASMSTART
	v_dot2_f32_f16 v90, v114, v106, v90
	;;#ASMEND
	;;#ASMSTART
	v_dot2_f32_f16 v90, v115, v107, v90
	;;#ASMEND
	v_add_co_ci_u32_e32 v5, vcc_lo, s37, v5, vcc_lo
	;;#ASMSTART
	v_dot2_f32_f16 v90, v116, v108, v90
	;;#ASMEND
	s_waitcnt lgkmcnt(0)
	;;#ASMSTART
	v_dot2_f32_f16 v96, v117, v8, v96
	;;#ASMEND
	v_add_co_u32 v6, vcc_lo, s22, v23
	;;#ASMSTART
	v_dot2_f32_f16 v96, v118, v9, v96
	;;#ASMEND
	;;#ASMSTART
	v_dot2_f32_f16 v96, v119, v10, v96
	;;#ASMEND
	v_add_co_ci_u32_e32 v7, vcc_lo, s23, v24, vcc_lo
	;;#ASMSTART
	v_dot2_f32_f16 v96, v120, v11, v96
	;;#ASMEND
	;;#ASMSTART
	v_dot2_f32_f16 v93, v117, v97, v93
	;;#ASMEND
	;; [unrolled: 3-line block ×4, first 2 shown]
	v_add_co_u32 v6, vcc_lo, v6, v47
	;;#ASMSTART
	v_dot2_f32_f16 v93, v120, v100, v93
	;;#ASMEND
	;;#ASMSTART
	v_dot2_f32_f16 v91, v117, v101, v91
	;;#ASMEND
	;; [unrolled: 3-line block ×3, first 2 shown]
	v_add_co_ci_u32_e32 v7, vcc_lo, 0, v7, vcc_lo
	;;#ASMSTART
	v_dot2_f32_f16 v91, v119, v103, v91
	;;#ASMEND
	;;#ASMSTART
	v_dot2_f32_f16 v91, v120, v104, v91
	;;#ASMEND
	;; [unrolled: 3-line block ×6, first 2 shown]
	s_clause 0x3
	flat_load_u16 v8, v[4:5]
	flat_load_u16 v9, v[4:5] offset:64
	flat_load_u16 v10, v[4:5] offset:128
	;; [unrolled: 1-line block ×3, first 2 shown]
	s_waitcnt vmcnt(0) lgkmcnt(0)
	s_barrier
	buffer_gl0_inv
	global_load_b128 v[4:7], v[6:7], off
	v_cmp_gt_i32_e32 vcc_lo, 32, v38
	v_cvt_f32_f16_e32 v11, v11
	s_waitcnt vmcnt(0)
	ds_store_b128 v51, v[4:7]
	v_dual_mov_b32 v5, v2 :: v_dual_mov_b32 v4, v3
	v_mov_b32_e32 v7, v0
	v_cvt_f32_f16_e32 v0, v9
	v_mov_b32_e32 v6, v1
	v_cvt_f32_f16_e32 v1, v8
	s_delay_alu instid0(VALU_DEP_3) | instskip(SKIP_1) | instid1(VALU_DEP_3)
	v_dual_add_f32 v8, v96, v11 :: v_dual_add_f32 v97, v95, v0
	v_add_f32_e32 v96, v84, v0
	v_dual_add_f32 v98, v87, v1 :: v_dual_add_f32 v87, v85, v0
	v_add_f32_e32 v83, v83, v1
	s_delay_alu instid0(VALU_DEP_2) | instskip(NEXT) | instid1(VALU_DEP_1)
	v_dual_add_f32 v2, 0x40051340, v97 :: v_dual_add_f32 v3, 0x40051340, v98
	v_max3_f32 v2, v7, v3, v2
	v_cvt_f32_f16_e32 v3, v10
	v_add_f32_e32 v10, 0x40051340, v8
	v_add_f32_e32 v82, v82, v1
	s_delay_alu instid0(VALU_DEP_3) | instskip(SKIP_1) | instid1(VALU_DEP_2)
	v_dual_add_f32 v81, v81, v1 :: v_dual_add_f32 v92, v92, v3
	v_add_f32_e32 v95, v89, v3
	v_add_f32_e32 v9, 0x40051340, v92
	s_delay_alu instid0(VALU_DEP_2) | instskip(NEXT) | instid1(VALU_DEP_2)
	v_add_f32_e32 v85, 0x40051340, v95
	v_max3_f32 v2, v2, v9, v10
	v_dual_add_f32 v9, 0x40051340, v87 :: v_dual_add_f32 v10, 0x40051340, v82
	s_delay_alu instid0(VALU_DEP_1) | instskip(SKIP_1) | instid1(VALU_DEP_1)
	v_max3_f32 v9, v6, v10, v9
	v_add_f32_e32 v10, v93, v11
	v_add_f32_e32 v89, 0x40051340, v10
	s_delay_alu instid0(VALU_DEP_1) | instskip(SKIP_1) | instid1(VALU_DEP_1)
	v_max3_f32 v93, v9, v85, v89
	v_dual_add_f32 v85, v86, v0 :: v_dual_add_f32 v86, 0x40051340, v83
	v_dual_add_f32 v0, 0x40051340, v96 :: v_dual_add_f32 v9, 0x40051340, v85
	s_delay_alu instid0(VALU_DEP_1) | instskip(SKIP_2) | instid1(VALU_DEP_2)
	v_max3_f32 v86, v4, v86, v9
	v_add_f32_e32 v9, v94, v11
	v_add_f32_e32 v89, v90, v3
	v_dual_add_f32 v11, v91, v11 :: v_dual_add_f32 v94, 0x40051340, v9
	s_delay_alu instid0(VALU_DEP_2) | instskip(NEXT) | instid1(VALU_DEP_1)
	v_add_f32_e32 v90, 0x40051340, v89
	v_max3_f32 v86, v86, v90, v94
	v_dual_add_f32 v90, v88, v3 :: v_dual_add_f32 v1, 0x40051340, v81
	s_delay_alu instid0(VALU_DEP_4) | instskip(NEXT) | instid1(VALU_DEP_2)
	v_add_f32_e32 v3, 0x40051340, v11
	v_max3_f32 v0, v5, v1, v0
	s_delay_alu instid0(VALU_DEP_3) | instskip(NEXT) | instid1(VALU_DEP_1)
	v_add_f32_e32 v1, 0x40051340, v90
	v_max3_f32 v84, v0, v1, v3
	v_cndmask_b32_e32 v0, v33, v38, vcc_lo
	v_cmp_gt_i32_e32 vcc_lo, 32, v37
	s_delay_alu instid0(VALU_DEP_2) | instskip(SKIP_4) | instid1(VALU_DEP_1)
	v_lshlrev_b32_e32 v88, 2, v0
	ds_bpermute_b32 v0, v88, v2
	ds_bpermute_b32 v1, v88, v93
	s_waitcnt lgkmcnt(0)
	v_dual_max_f32 v0, v0, v0 :: v_dual_max_f32 v1, v1, v1
	v_max_f32_e32 v0, v2, v0
	v_cndmask_b32_e32 v2, v33, v37, vcc_lo
	s_delay_alu instid0(VALU_DEP_3) | instskip(SKIP_1) | instid1(VALU_DEP_3)
	v_max_f32_e32 v1, v93, v1
	v_cmp_gt_i32_e32 vcc_lo, 32, v36
	v_lshlrev_b32_e32 v2, 2, v2
	ds_bpermute_b32 v3, v2, v0
	s_waitcnt lgkmcnt(0)
	v_max_f32_e32 v3, v3, v3
	s_delay_alu instid0(VALU_DEP_1) | instskip(SKIP_3) | instid1(VALU_DEP_1)
	v_max_f32_e32 v0, v0, v3
	ds_bpermute_b32 v3, v2, v1
	s_waitcnt lgkmcnt(0)
	v_max_f32_e32 v3, v3, v3
	v_max_f32_e32 v1, v1, v3
	v_cndmask_b32_e32 v3, v33, v36, vcc_lo
	v_cmp_gt_i32_e32 vcc_lo, 32, v35
	s_delay_alu instid0(VALU_DEP_2) | instskip(SKIP_3) | instid1(VALU_DEP_1)
	v_lshlrev_b32_e32 v91, 2, v3
	ds_bpermute_b32 v3, v91, v0
	s_waitcnt lgkmcnt(0)
	v_max_f32_e32 v3, v3, v3
	v_max_f32_e32 v0, v0, v3
	ds_bpermute_b32 v3, v91, v1
	s_waitcnt lgkmcnt(0)
	v_max_f32_e32 v3, v3, v3
	s_delay_alu instid0(VALU_DEP_1) | instskip(SKIP_2) | instid1(VALU_DEP_2)
	v_max_f32_e32 v1, v1, v3
	v_cndmask_b32_e32 v3, v33, v35, vcc_lo
	v_cmp_gt_i32_e32 vcc_lo, 32, v34
	v_lshlrev_b32_e32 v93, 2, v3
	ds_bpermute_b32 v3, v93, v0
	s_waitcnt lgkmcnt(0)
	v_max_f32_e32 v3, v3, v3
	s_delay_alu instid0(VALU_DEP_1) | instskip(SKIP_3) | instid1(VALU_DEP_1)
	v_max_f32_e32 v0, v0, v3
	ds_bpermute_b32 v3, v93, v1
	s_waitcnt lgkmcnt(0)
	v_max_f32_e32 v3, v3, v3
	v_max_f32_e32 v1, v1, v3
	v_cndmask_b32_e32 v3, v33, v34, vcc_lo
	s_delay_alu instid0(VALU_DEP_1) | instskip(SKIP_3) | instid1(VALU_DEP_1)
	v_lshlrev_b32_e32 v94, 2, v3
	ds_bpermute_b32 v3, v94, v0
	s_waitcnt lgkmcnt(0)
	v_max_f32_e32 v3, v3, v3
	v_max_f32_e32 v0, v0, v3
	ds_bpermute_b32 v3, v88, v86
	s_waitcnt lgkmcnt(0)
	v_max_f32_e32 v3, v3, v3
	s_delay_alu instid0(VALU_DEP_1) | instskip(SKIP_3) | instid1(VALU_DEP_1)
	v_max_f32_e32 v3, v86, v3
	ds_bpermute_b32 v86, v2, v3
	s_waitcnt lgkmcnt(0)
	v_max_f32_e32 v86, v86, v86
	v_max_f32_e32 v3, v3, v86
	ds_bpermute_b32 v86, v91, v3
	s_waitcnt lgkmcnt(0)
	v_max_f32_e32 v86, v86, v86
	s_delay_alu instid0(VALU_DEP_1) | instskip(SKIP_3) | instid1(VALU_DEP_1)
	v_max_f32_e32 v3, v3, v86
	ds_bpermute_b32 v86, v93, v3
	s_waitcnt lgkmcnt(0)
	v_max_f32_e32 v86, v86, v86
	v_dual_max_f32 v3, v3, v86 :: v_dual_sub_f32 v8, v8, v0
	v_sub_f32_e32 v7, v7, v0
	ds_bpermute_b32 v86, v94, v3
	s_waitcnt lgkmcnt(0)
	v_max_f32_e32 v86, v86, v86
	s_delay_alu instid0(VALU_DEP_1) | instskip(SKIP_3) | instid1(VALU_DEP_1)
	v_max_f32_e32 v3, v3, v86
	ds_bpermute_b32 v86, v88, v84
	s_waitcnt lgkmcnt(0)
	v_max_f32_e32 v86, v86, v86
	v_max_f32_e32 v84, v84, v86
	ds_bpermute_b32 v2, v2, v84
	s_waitcnt lgkmcnt(0)
	v_max_f32_e32 v2, v2, v2
	s_delay_alu instid0(VALU_DEP_1) | instskip(SKIP_3) | instid1(VALU_DEP_1)
	v_max_f32_e32 v2, v84, v2
	ds_bpermute_b32 v84, v91, v2
	s_waitcnt lgkmcnt(0)
	v_max_f32_e32 v84, v84, v84
	v_max_f32_e32 v2, v2, v84
	ds_bpermute_b32 v84, v93, v2
	s_waitcnt lgkmcnt(0)
	v_max_f32_e32 v84, v84, v84
	ds_bpermute_b32 v99, v94, v1
	v_max_f32_e32 v2, v2, v84
	ds_bpermute_b32 v84, v94, v2
	s_waitcnt lgkmcnt(0)
	v_dual_max_f32 v99, v99, v99 :: v_dual_max_f32 v84, v84, v84
	s_delay_alu instid0(VALU_DEP_1) | instskip(NEXT) | instid1(VALU_DEP_1)
	v_dual_max_f32 v1, v1, v99 :: v_dual_max_f32 v2, v2, v84
	v_sub_f32_e32 v82, v82, v1
	v_sub_f32_e32 v6, v6, v1
	s_delay_alu instid0(VALU_DEP_3) | instskip(NEXT) | instid1(VALU_DEP_3)
	v_sub_f32_e32 v90, v90, v2
	v_mul_f32_e32 v84, 0x3fb8aa3b, v82
	v_cmp_ngt_f32_e32 vcc_lo, 0xc2ce8ed0, v82
	v_cmp_nlt_f32_e64 s2, 0x42b17218, v82
	v_sub_f32_e32 v5, v5, v2
	s_delay_alu instid0(VALU_DEP_4) | instskip(NEXT) | instid1(VALU_DEP_1)
	v_fma_f32 v86, 0x3fb8aa3b, v82, -v84
	v_fmac_f32_e32 v86, 0x32a5705f, v82
	v_dual_sub_f32 v82, v98, v0 :: v_dual_sub_f32 v85, v85, v3
	v_sub_f32_e32 v89, v89, v3
	v_sub_f32_e32 v4, v4, v3
	s_delay_alu instid0(VALU_DEP_3) | instskip(SKIP_2) | instid1(VALU_DEP_3)
	v_mul_f32_e32 v88, 0x3fb8aa3b, v82
	v_cmp_ngt_f32_e64 s3, 0xc2ce8ed0, v82
	v_cmp_nlt_f32_e64 s4, 0x42b17218, v82
	v_fma_f32 v91, 0x3fb8aa3b, v82, -v88
	s_delay_alu instid0(VALU_DEP_1) | instskip(SKIP_1) | instid1(VALU_DEP_2)
	v_dual_fmac_f32 v91, 0x32a5705f, v82 :: v_dual_sub_f32 v82, v83, v3
	v_sub_f32_e32 v81, v81, v2
	v_mul_f32_e32 v83, 0x3fb8aa3b, v82
	v_cmp_ngt_f32_e64 s5, 0xc2ce8ed0, v82
	v_cmp_nlt_f32_e64 s6, 0x42b17218, v82
	s_delay_alu instid0(VALU_DEP_4) | instskip(SKIP_2) | instid1(VALU_DEP_1)
	v_cmp_ngt_f32_e64 s7, 0xc2ce8ed0, v81
	v_cmp_nlt_f32_e64 s8, 0x42b17218, v81
	v_fma_f32 v93, 0x3fb8aa3b, v82, -v83
	v_fmac_f32_e32 v93, 0x32a5705f, v82
	v_mul_f32_e32 v82, 0x3fb8aa3b, v81
	s_delay_alu instid0(VALU_DEP_1) | instskip(NEXT) | instid1(VALU_DEP_1)
	v_fma_f32 v94, 0x3fb8aa3b, v81, -v82
	v_fmac_f32_e32 v94, 0x32a5705f, v81
	v_rndne_f32_e32 v81, v84
	s_delay_alu instid0(VALU_DEP_1) | instskip(SKIP_1) | instid1(VALU_DEP_2)
	v_sub_f32_e32 v84, v84, v81
	v_cvt_i32_f32_e32 v81, v81
	v_add_f32_e32 v84, v84, v86
	v_rndne_f32_e32 v86, v88
	s_delay_alu instid0(VALU_DEP_2) | instskip(NEXT) | instid1(VALU_DEP_1)
	v_exp_f32_e32 v84, v84
	v_sub_f32_e32 v88, v88, v86
	s_delay_alu instid0(VALU_DEP_1)
	v_add_f32_e32 v88, v88, v91
	v_rndne_f32_e32 v91, v83
	s_waitcnt_depctr 0xfff
	v_ldexp_f32 v81, v84, v81
	v_sub_f32_e32 v83, v83, v91
	v_cvt_i32_f32_e32 v84, v91
	s_delay_alu instid0(VALU_DEP_2) | instskip(SKIP_1) | instid1(VALU_DEP_2)
	v_add_f32_e32 v83, v83, v93
	v_rndne_f32_e32 v93, v82
	v_exp_f32_e32 v83, v83
	s_delay_alu instid0(VALU_DEP_1) | instskip(NEXT) | instid1(VALU_DEP_1)
	v_sub_f32_e32 v82, v82, v93
	v_add_f32_e32 v82, v82, v94
	s_waitcnt_depctr 0xfff
	v_ldexp_f32 v83, v83, v84
	v_exp_f32_e32 v82, v82
	v_cvt_i32_f32_e32 v84, v93
	s_delay_alu instid0(VALU_DEP_2) | instskip(SKIP_4) | instid1(VALU_DEP_2)
	v_cndmask_b32_e64 v83, 0, v83, s5
	s_waitcnt_depctr 0xfff
	v_ldexp_f32 v82, v82, v84
	v_cvt_i32_f32_e32 v84, v86
	v_exp_f32_e32 v86, v88
	v_cndmask_b32_e64 v82, 0, v82, s7
	v_cmp_ngt_f32_e64 s7, 0xc2ce8ed0, v85
	s_delay_alu instid0(VALU_DEP_2)
	v_cndmask_b32_e64 v82, 0x7f800000, v82, s8
	v_cmp_nlt_f32_e64 s8, 0x42b17218, v85
	s_waitcnt_depctr 0xfff
	v_ldexp_f32 v84, v86, v84
	v_cndmask_b32_e32 v86, 0, v81, vcc_lo
	v_cndmask_b32_e64 v81, 0x7f800000, v83, s6
	v_cvt_f16_f32_e32 v88, v82
	s_delay_alu instid0(VALU_DEP_4) | instskip(NEXT) | instid1(VALU_DEP_4)
	v_cndmask_b32_e64 v84, 0, v84, s3
	v_cndmask_b32_e64 v83, 0x7f800000, v86, s2
	s_delay_alu instid0(VALU_DEP_4) | instskip(NEXT) | instid1(VALU_DEP_3)
	v_cvt_f16_f32_e32 v86, v81
	v_cndmask_b32_e64 v84, 0x7f800000, v84, s4
	s_delay_alu instid0(VALU_DEP_2) | instskip(NEXT) | instid1(VALU_DEP_4)
	v_pack_b32_f16 v94, v88, v86
	v_cvt_f16_f32_e32 v86, v83
	s_delay_alu instid0(VALU_DEP_3) | instskip(NEXT) | instid1(VALU_DEP_1)
	v_cvt_f16_f32_e32 v88, v84
	v_pack_b32_f16 v93, v88, v86
	v_sub_f32_e32 v86, v97, v0
	s_delay_alu instid0(VALU_DEP_1) | instskip(SKIP_2) | instid1(VALU_DEP_3)
	v_mul_f32_e32 v88, 0x3fb8aa3b, v86
	v_cmp_ngt_f32_e32 vcc_lo, 0xc2ce8ed0, v86
	v_cmp_nlt_f32_e64 s2, 0x42b17218, v86
	v_fma_f32 v91, 0x3fb8aa3b, v86, -v88
	s_delay_alu instid0(VALU_DEP_1) | instskip(NEXT) | instid1(VALU_DEP_1)
	v_dual_fmac_f32 v91, 0x32a5705f, v86 :: v_dual_sub_f32 v86, v87, v1
	v_mul_f32_e32 v87, 0x3fb8aa3b, v86
	v_cmp_ngt_f32_e64 s3, 0xc2ce8ed0, v86
	v_cmp_nlt_f32_e64 s4, 0x42b17218, v86
	s_delay_alu instid0(VALU_DEP_3) | instskip(NEXT) | instid1(VALU_DEP_1)
	v_fma_f32 v97, 0x3fb8aa3b, v86, -v87
	v_fmac_f32_e32 v97, 0x32a5705f, v86
	v_sub_f32_e32 v86, v96, v2
	s_delay_alu instid0(VALU_DEP_1) | instskip(SKIP_2) | instid1(VALU_DEP_3)
	v_mul_f32_e32 v96, 0x3fb8aa3b, v86
	v_cmp_ngt_f32_e64 s5, 0xc2ce8ed0, v86
	v_cmp_nlt_f32_e64 s6, 0x42b17218, v86
	v_fma_f32 v98, 0x3fb8aa3b, v86, -v96
	s_delay_alu instid0(VALU_DEP_1) | instskip(SKIP_1) | instid1(VALU_DEP_1)
	v_fmac_f32_e32 v98, 0x32a5705f, v86
	v_mul_f32_e32 v86, 0x3fb8aa3b, v85
	v_fma_f32 v99, 0x3fb8aa3b, v85, -v86
	s_delay_alu instid0(VALU_DEP_1) | instskip(SKIP_1) | instid1(VALU_DEP_1)
	v_fmac_f32_e32 v99, 0x32a5705f, v85
	v_rndne_f32_e32 v85, v88
	v_sub_f32_e32 v88, v88, v85
	v_cvt_i32_f32_e32 v85, v85
	s_delay_alu instid0(VALU_DEP_2) | instskip(SKIP_1) | instid1(VALU_DEP_2)
	v_add_f32_e32 v88, v88, v91
	v_rndne_f32_e32 v91, v87
	v_exp_f32_e32 v88, v88
	s_delay_alu instid0(VALU_DEP_1) | instskip(SKIP_1) | instid1(VALU_DEP_2)
	v_sub_f32_e32 v87, v87, v91
	v_cvt_i32_f32_e32 v91, v91
	v_add_f32_e32 v87, v87, v97
	v_rndne_f32_e32 v97, v96
	s_waitcnt_depctr 0xfff
	v_ldexp_f32 v85, v88, v85
	v_exp_f32_e32 v87, v87
	v_sub_f32_e32 v96, v96, v97
	v_cvt_i32_f32_e32 v88, v97
	s_delay_alu instid0(VALU_DEP_2)
	v_add_f32_e32 v96, v96, v98
	v_rndne_f32_e32 v98, v86
	s_waitcnt_depctr 0xfff
	v_ldexp_f32 v87, v87, v91
	v_exp_f32_e32 v96, v96
	v_sub_f32_e32 v86, v86, v98
	s_delay_alu instid0(VALU_DEP_2) | instskip(NEXT) | instid1(VALU_DEP_2)
	v_cndmask_b32_e64 v87, 0, v87, s3
	v_add_f32_e32 v86, v86, v99
	s_delay_alu instid0(VALU_DEP_2) | instskip(SKIP_4) | instid1(VALU_DEP_2)
	v_cndmask_b32_e64 v87, 0x7f800000, v87, s4
	s_waitcnt_depctr 0xfff
	v_ldexp_f32 v88, v96, v88
	v_exp_f32_e32 v86, v86
	v_cvt_i32_f32_e32 v96, v98
	v_cndmask_b32_e64 v88, 0, v88, s5
	v_cmp_ngt_f32_e64 s5, 0xc2ce8ed0, v90
	s_waitcnt_depctr 0xfff
	v_ldexp_f32 v86, v86, v96
	v_cndmask_b32_e32 v96, 0, v85, vcc_lo
	s_delay_alu instid0(VALU_DEP_2) | instskip(SKIP_1) | instid1(VALU_DEP_3)
	v_cndmask_b32_e64 v91, 0, v86, s7
	v_cndmask_b32_e64 v86, 0x7f800000, v88, s6
	v_cndmask_b32_e64 v88, 0x7f800000, v96, s2
	v_cmp_nlt_f32_e64 s6, 0x42b17218, v90
	v_cmp_ngt_f32_e64 s7, 0xc2ce8ed0, v89
	v_cndmask_b32_e64 v85, 0x7f800000, v91, s8
	v_cvt_f16_f32_e32 v91, v86
	v_cmp_nlt_f32_e64 s8, 0x42b17218, v89
	s_delay_alu instid0(VALU_DEP_3) | instskip(NEXT) | instid1(VALU_DEP_1)
	v_cvt_f16_f32_e32 v96, v85
	v_pack_b32_f16 v97, v91, v96
	v_cvt_f16_f32_e32 v91, v88
	v_cvt_f16_f32_e32 v96, v87
	s_delay_alu instid0(VALU_DEP_1)
	v_pack_b32_f16 v96, v91, v96
	v_sub_f32_e32 v91, v92, v0
	ds_store_2addr_b64 v56, v[93:94], v[96:97] offset1:32
	v_mul_f32_e32 v92, 0x3fb8aa3b, v91
	v_cmp_ngt_f32_e32 vcc_lo, 0xc2ce8ed0, v91
	v_cmp_nlt_f32_e64 s2, 0x42b17218, v91
	s_delay_alu instid0(VALU_DEP_3) | instskip(NEXT) | instid1(VALU_DEP_1)
	v_fma_f32 v93, 0x3fb8aa3b, v91, -v92
	v_fmac_f32_e32 v93, 0x32a5705f, v91
	v_sub_f32_e32 v91, v95, v1
	s_delay_alu instid0(VALU_DEP_1) | instskip(SKIP_2) | instid1(VALU_DEP_3)
	v_mul_f32_e32 v94, 0x3fb8aa3b, v91
	v_cmp_ngt_f32_e64 s3, 0xc2ce8ed0, v91
	v_cmp_nlt_f32_e64 s4, 0x42b17218, v91
	v_fma_f32 v95, 0x3fb8aa3b, v91, -v94
	s_delay_alu instid0(VALU_DEP_1) | instskip(SKIP_1) | instid1(VALU_DEP_1)
	v_fmac_f32_e32 v95, 0x32a5705f, v91
	v_mul_f32_e32 v91, 0x3fb8aa3b, v90
	v_fma_f32 v96, 0x3fb8aa3b, v90, -v91
	s_delay_alu instid0(VALU_DEP_1) | instskip(SKIP_1) | instid1(VALU_DEP_1)
	v_fmac_f32_e32 v96, 0x32a5705f, v90
	v_mul_f32_e32 v90, 0x3fb8aa3b, v89
	v_fma_f32 v97, 0x3fb8aa3b, v89, -v90
	s_delay_alu instid0(VALU_DEP_1) | instskip(SKIP_1) | instid1(VALU_DEP_1)
	v_fmac_f32_e32 v97, 0x32a5705f, v89
	v_rndne_f32_e32 v89, v92
	v_sub_f32_e32 v92, v92, v89
	v_cvt_i32_f32_e32 v89, v89
	s_delay_alu instid0(VALU_DEP_2) | instskip(SKIP_1) | instid1(VALU_DEP_2)
	v_add_f32_e32 v92, v92, v93
	v_rndne_f32_e32 v93, v94
	v_exp_f32_e32 v92, v92
	s_delay_alu instid0(VALU_DEP_1) | instskip(NEXT) | instid1(VALU_DEP_1)
	v_sub_f32_e32 v94, v94, v93
	v_add_f32_e32 v94, v94, v95
	v_rndne_f32_e32 v95, v91
	s_waitcnt_depctr 0xfff
	v_ldexp_f32 v89, v92, v89
	v_sub_f32_e32 v91, v91, v95
	v_cvt_i32_f32_e32 v92, v95
	s_delay_alu instid0(VALU_DEP_2) | instskip(SKIP_1) | instid1(VALU_DEP_2)
	v_add_f32_e32 v91, v91, v96
	v_rndne_f32_e32 v96, v90
	v_exp_f32_e32 v91, v91
	s_delay_alu instid0(VALU_DEP_1) | instskip(NEXT) | instid1(VALU_DEP_1)
	v_sub_f32_e32 v90, v90, v96
	v_add_f32_e32 v90, v90, v97
	s_waitcnt_depctr 0xfff
	v_ldexp_f32 v91, v91, v92
	v_exp_f32_e32 v90, v90
	v_cvt_i32_f32_e32 v92, v96
	s_delay_alu instid0(VALU_DEP_2)
	v_cndmask_b32_e64 v91, 0, v91, s5
	s_waitcnt_depctr 0xfff
	v_ldexp_f32 v90, v90, v92
	v_cvt_i32_f32_e32 v92, v93
	v_exp_f32_e32 v93, v94
	v_cndmask_b32_e32 v94, 0, v89, vcc_lo
	v_cmp_ngt_f32_e32 vcc_lo, 0xc2ce8ed0, v8
	s_waitcnt_depctr 0xfff
	v_ldexp_f32 v92, v93, v92
	v_cndmask_b32_e64 v93, 0, v90, s7
	v_cndmask_b32_e64 v90, 0x7f800000, v91, s6
	s_delay_alu instid0(VALU_DEP_3) | instskip(NEXT) | instid1(VALU_DEP_3)
	v_cndmask_b32_e64 v95, 0, v92, s3
	v_cndmask_b32_e64 v89, 0x7f800000, v93, s8
	;; [unrolled: 1-line block ×3, first 2 shown]
	s_delay_alu instid0(VALU_DEP_4) | instskip(SKIP_3) | instid1(VALU_DEP_1)
	v_cvt_f16_f32_e32 v93, v90
	v_cmp_nlt_f32_e64 s2, 0x42b17218, v8
	v_cndmask_b32_e64 v91, 0x7f800000, v95, s4
	v_cvt_f16_f32_e32 v94, v89
	v_pack_b32_f16 v98, v93, v94
	v_cvt_f16_f32_e32 v93, v92
	s_delay_alu instid0(VALU_DEP_4) | instskip(NEXT) | instid1(VALU_DEP_1)
	v_cvt_f16_f32_e32 v94, v91
	v_pack_b32_f16 v97, v93, v94
	v_mul_f32_e32 v93, 0x3fb8aa3b, v8
	s_delay_alu instid0(VALU_DEP_1) | instskip(NEXT) | instid1(VALU_DEP_1)
	v_fma_f32 v94, 0x3fb8aa3b, v8, -v93
	v_fmac_f32_e32 v94, 0x32a5705f, v8
	v_sub_f32_e32 v8, v10, v1
	s_delay_alu instid0(VALU_DEP_1) | instskip(SKIP_2) | instid1(VALU_DEP_3)
	v_mul_f32_e32 v10, 0x3fb8aa3b, v8
	v_cmp_ngt_f32_e64 s3, 0xc2ce8ed0, v8
	v_cmp_nlt_f32_e64 s4, 0x42b17218, v8
	v_fma_f32 v95, 0x3fb8aa3b, v8, -v10
	s_delay_alu instid0(VALU_DEP_1) | instskip(NEXT) | instid1(VALU_DEP_1)
	v_dual_fmac_f32 v95, 0x32a5705f, v8 :: v_dual_sub_f32 v8, v11, v2
	v_mul_f32_e32 v11, 0x3fb8aa3b, v8
	v_cmp_ngt_f32_e64 s5, 0xc2ce8ed0, v8
	v_cmp_nlt_f32_e64 s6, 0x42b17218, v8
	s_delay_alu instid0(VALU_DEP_3) | instskip(NEXT) | instid1(VALU_DEP_1)
	v_fma_f32 v96, 0x3fb8aa3b, v8, -v11
	v_fmac_f32_e32 v96, 0x32a5705f, v8
	v_sub_f32_e32 v8, v9, v3
	s_delay_alu instid0(VALU_DEP_1) | instskip(SKIP_2) | instid1(VALU_DEP_3)
	v_mul_f32_e32 v9, 0x3fb8aa3b, v8
	v_cmp_ngt_f32_e64 s7, 0xc2ce8ed0, v8
	v_cmp_nlt_f32_e64 s8, 0x42b17218, v8
	v_fma_f32 v99, 0x3fb8aa3b, v8, -v9
	s_delay_alu instid0(VALU_DEP_1) | instskip(SKIP_1) | instid1(VALU_DEP_1)
	v_fmac_f32_e32 v99, 0x32a5705f, v8
	v_rndne_f32_e32 v8, v93
	v_sub_f32_e32 v93, v93, v8
	v_cvt_i32_f32_e32 v8, v8
	s_delay_alu instid0(VALU_DEP_2) | instskip(SKIP_1) | instid1(VALU_DEP_2)
	v_add_f32_e32 v93, v93, v94
	v_rndne_f32_e32 v94, v10
	v_exp_f32_e32 v93, v93
	s_delay_alu instid0(VALU_DEP_1) | instskip(NEXT) | instid1(VALU_DEP_1)
	v_sub_f32_e32 v10, v10, v94
	v_add_f32_e32 v10, v10, v95
	v_rndne_f32_e32 v95, v11
	s_waitcnt_depctr 0xfff
	v_ldexp_f32 v8, v93, v8
	v_exp_f32_e32 v10, v10
	v_sub_f32_e32 v11, v11, v95
	v_cvt_i32_f32_e32 v93, v95
	s_delay_alu instid0(VALU_DEP_3) | instskip(NEXT) | instid1(VALU_DEP_3)
	v_cndmask_b32_e32 v8, 0, v8, vcc_lo
	v_add_f32_e32 v11, v11, v96
	v_rndne_f32_e32 v96, v9
	s_delay_alu instid0(VALU_DEP_2) | instskip(NEXT) | instid1(VALU_DEP_1)
	v_exp_f32_e32 v11, v11
	v_sub_f32_e32 v9, v9, v96
	s_delay_alu instid0(VALU_DEP_1)
	v_add_f32_e32 v9, v9, v99
	s_waitcnt_depctr 0xfff
	v_ldexp_f32 v11, v11, v93
	v_exp_f32_e32 v9, v9
	v_cvt_i32_f32_e32 v93, v96
	v_cndmask_b32_e64 v96, 0x7f800000, v8, s2
	v_cmp_nlt_f32_e64 s2, 0x42b17218, v7
	v_cndmask_b32_e64 v11, 0, v11, s5
	v_cmp_ngt_f32_e64 s5, 0xc2ce8ed0, v5
	s_waitcnt_depctr 0xfff
	v_ldexp_f32 v9, v9, v93
	v_cvt_i32_f32_e32 v93, v94
	v_cndmask_b32_e64 v94, 0x7f800000, v11, s6
	v_cmp_nlt_f32_e64 s6, 0x42b17218, v5
	s_delay_alu instid0(VALU_DEP_4) | instskip(NEXT) | instid1(VALU_DEP_4)
	v_cndmask_b32_e64 v9, 0, v9, s7
	v_ldexp_f32 v10, v10, v93
	s_delay_alu instid0(VALU_DEP_4) | instskip(SKIP_1) | instid1(VALU_DEP_4)
	v_cvt_f16_f32_e32 v8, v94
	v_cmp_ngt_f32_e64 s7, 0xc2ce8ed0, v4
	v_cndmask_b32_e64 v93, 0x7f800000, v9, s8
	s_delay_alu instid0(VALU_DEP_4) | instskip(SKIP_2) | instid1(VALU_DEP_4)
	v_cndmask_b32_e64 v10, 0, v10, s3
	v_cmp_ngt_f32_e64 s3, 0xc2ce8ed0, v6
	v_cmp_nlt_f32_e64 s8, 0x42b17218, v4
	v_cvt_f16_f32_e32 v9, v93
	s_delay_alu instid0(VALU_DEP_4) | instskip(SKIP_1) | instid1(VALU_DEP_3)
	v_cndmask_b32_e64 v95, 0x7f800000, v10, s4
	v_cmp_nlt_f32_e64 s4, 0x42b17218, v6
	v_pack_b32_f16 v9, v8, v9
	v_cvt_f16_f32_e32 v8, v96
	s_delay_alu instid0(VALU_DEP_4) | instskip(NEXT) | instid1(VALU_DEP_1)
	v_cvt_f16_f32_e32 v10, v95
	v_pack_b32_f16 v8, v8, v10
	ds_store_2addr_b64 v56, v[97:98], v[8:9] offset0:64 offset1:96
	v_add_co_u32 v8, vcc_lo, s22, v25
	v_add_co_ci_u32_e32 v9, vcc_lo, s23, v26, vcc_lo
	s_delay_alu instid0(VALU_DEP_2) | instskip(NEXT) | instid1(VALU_DEP_2)
	v_add_co_u32 v8, vcc_lo, v8, v47
	v_add_co_ci_u32_e32 v9, vcc_lo, 0, v9, vcc_lo
	global_load_b128 v[8:11], v[8:9], off
	s_waitcnt vmcnt(0)
	ds_store_b128 v52, v[8:11]
	v_add_co_u32 v8, vcc_lo, s22, v27
	v_add_co_ci_u32_e32 v9, vcc_lo, s23, v28, vcc_lo
	s_delay_alu instid0(VALU_DEP_2) | instskip(NEXT) | instid1(VALU_DEP_2)
	v_add_co_u32 v8, vcc_lo, v8, v47
	v_add_co_ci_u32_e32 v9, vcc_lo, 0, v9, vcc_lo
	global_load_b128 v[8:11], v[8:9], off
	s_waitcnt vmcnt(0)
	ds_store_b128 v53, v[8:11]
	v_add_co_u32 v8, vcc_lo, s22, v29
	v_add_co_ci_u32_e32 v9, vcc_lo, s23, v30, vcc_lo
	s_delay_alu instid0(VALU_DEP_2) | instskip(NEXT) | instid1(VALU_DEP_2)
	v_add_co_u32 v8, vcc_lo, v8, v47
	v_add_co_ci_u32_e32 v9, vcc_lo, 0, v9, vcc_lo
	v_cmp_ngt_f32_e32 vcc_lo, 0xc2ce8ed0, v7
	global_load_b128 v[8:11], v[8:9], off
	s_waitcnt vmcnt(0)
	ds_store_b128 v54, v[8:11]
	v_mul_f32_e32 v8, 0x3fb8aa3b, v7
	s_waitcnt lgkmcnt(0)
	s_barrier
	buffer_gl0_inv
	v_fma_f32 v9, 0x3fb8aa3b, v7, -v8
	s_delay_alu instid0(VALU_DEP_1) | instskip(SKIP_1) | instid1(VALU_DEP_1)
	v_fmac_f32_e32 v9, 0x32a5705f, v7
	v_mul_f32_e32 v7, 0x3fb8aa3b, v6
	v_fma_f32 v10, 0x3fb8aa3b, v6, -v7
	s_delay_alu instid0(VALU_DEP_1) | instskip(SKIP_1) | instid1(VALU_DEP_1)
	v_fmac_f32_e32 v10, 0x32a5705f, v6
	v_mul_f32_e32 v6, 0x3fb8aa3b, v5
	;; [unrolled: 4-line block ×3, first 2 shown]
	v_fma_f32 v97, 0x3fb8aa3b, v4, -v5
	s_delay_alu instid0(VALU_DEP_1) | instskip(SKIP_1) | instid1(VALU_DEP_1)
	v_fmac_f32_e32 v97, 0x32a5705f, v4
	v_rndne_f32_e32 v4, v8
	v_sub_f32_e32 v8, v8, v4
	v_cvt_i32_f32_e32 v4, v4
	s_delay_alu instid0(VALU_DEP_2) | instskip(SKIP_1) | instid1(VALU_DEP_2)
	v_add_f32_e32 v8, v8, v9
	v_rndne_f32_e32 v9, v7
	v_exp_f32_e32 v8, v8
	s_delay_alu instid0(VALU_DEP_1) | instskip(NEXT) | instid1(VALU_DEP_1)
	v_sub_f32_e32 v7, v7, v9
	v_add_f32_e32 v7, v7, v10
	v_rndne_f32_e32 v10, v6
	s_waitcnt_depctr 0xfff
	v_ldexp_f32 v4, v8, v4
	v_exp_f32_e32 v7, v7
	v_sub_f32_e32 v6, v6, v10
	v_cvt_i32_f32_e32 v8, v9
	s_delay_alu instid0(VALU_DEP_3) | instskip(NEXT) | instid1(VALU_DEP_3)
	v_cndmask_b32_e32 v4, 0, v4, vcc_lo
	v_add_f32_e32 v6, v6, v11
	v_rndne_f32_e32 v11, v5
	s_delay_alu instid0(VALU_DEP_3) | instskip(NEXT) | instid1(TRANS32_DEP_1)
	v_cndmask_b32_e64 v100, 0x7f800000, v4, s2
	v_ldexp_f32 v7, v7, v8
	s_delay_alu instid0(VALU_DEP_4) | instskip(NEXT) | instid1(VALU_DEP_3)
	v_exp_f32_e32 v6, v6
	v_sub_f32_e32 v5, v5, v11
	v_cvt_i32_f32_e32 v8, v11
	v_cvt_f16_f32_e32 v101, v100
	s_or_b32 s2, s9, 32
	s_delay_alu instid0(VALU_DEP_3) | instskip(NEXT) | instid1(VALU_DEP_2)
	v_add_f32_e32 v5, v5, v97
	v_pk_mul_f16 v80, v101, v80 op_sel_hi:[0,1]
	v_pk_mul_f16 v78, v101, v78 op_sel_hi:[0,1]
	v_pk_mul_f16 v79, v101, v79 op_sel_hi:[0,1]
	s_delay_alu instid0(VALU_DEP_4) | instskip(SKIP_3) | instid1(VALU_DEP_2)
	v_exp_f32_e32 v5, v5
	s_waitcnt_depctr 0xfff
	v_ldexp_f32 v5, v5, v8
	v_cvt_i32_f32_e32 v8, v10
	v_cndmask_b32_e64 v5, 0, v5, s7
	s_delay_alu instid0(VALU_DEP_2) | instskip(NEXT) | instid1(VALU_DEP_2)
	v_ldexp_f32 v6, v6, v8
	v_cndmask_b32_e64 v97, 0x7f800000, v5, s8
	s_delay_alu instid0(VALU_DEP_2) | instskip(NEXT) | instid1(VALU_DEP_2)
	v_cndmask_b32_e64 v6, 0, v6, s5
	v_cvt_f16_f32_e32 v5, v97
	s_delay_alu instid0(VALU_DEP_2) | instskip(NEXT) | instid1(VALU_DEP_2)
	v_cndmask_b32_e64 v98, 0x7f800000, v6, s6
	v_pk_mul_f16 v67, v5, v67 op_sel_hi:[0,1]
	v_pk_mul_f16 v68, v5, v68 op_sel_hi:[0,1]
	;; [unrolled: 1-line block ×4, first 2 shown]
	v_cndmask_b32_e64 v5, 0, v7, s3
	v_cvt_f16_f32_e32 v103, v98
	s_mul_hi_i32 s3, s2, s16
	s_mul_i32 s2, s2, s16
	s_delay_alu instid0(VALU_DEP_2)
	v_cndmask_b32_e64 v99, 0x7f800000, v5, s4
	ds_load_2addr_b64 v[4:7], v57 offset1:32
	ds_load_b128 v[8:11], v50
	v_pk_mul_f16 v72, v103, v72 op_sel_hi:[0,1]
	v_pk_mul_f16 v70, v103, v70 op_sel_hi:[0,1]
	;; [unrolled: 1-line block ×3, first 2 shown]
	v_cvt_f16_f32_e32 v102, v99
	s_lshl_b64 s[2:3], s[2:3], 2
	s_delay_alu instid0(SALU_CYCLE_1) | instskip(SKIP_1) | instid1(VALU_DEP_1)
	s_add_u32 s2, s20, s2
	s_addc_u32 s3, s21, s3
	v_pk_mul_f16 v76, v102, v76 op_sel_hi:[0,1]
	v_pk_mul_f16 v74, v102, v74 op_sel_hi:[0,1]
	;; [unrolled: 1-line block ×3, first 2 shown]
	s_waitcnt lgkmcnt(0)
	v_pk_fma_f16 v67, v4, v9, v67 op_sel:[0,1,0]
	v_pk_fma_f16 v80, v5, v8, v80 op_sel_hi:[1,0,1]
	v_pk_fma_f16 v76, v5, v8, v76 op_sel:[0,1,0]
	v_pk_fma_f16 v72, v5, v9, v72 op_sel_hi:[1,0,1]
	;; [unrolled: 2-line block ×4, first 2 shown]
	v_pk_fma_f16 v66, v6, v9, v66 op_sel:[0,1,0]
	v_pk_mul_f16 v5, v4, v8 op_sel_hi:[1,0]
	v_pk_mul_f16 v6, v4, v8 op_sel:[0,1]
	v_pk_mul_f16 v4, v4, v9 op_sel_hi:[1,0]
	v_pk_fma_f16 v79, v7, v8, v79 op_sel_hi:[1,0,1]
	v_pk_fma_f16 v75, v7, v8, v75 op_sel:[0,1,0]
	v_pk_fma_f16 v71, v7, v9, v71 op_sel_hi:[1,0,1]
	v_pk_fma_f16 v65, v7, v9, v65 op_sel:[0,1,0]
	v_pk_fma_f16 v8, v101, v77, v5 op_sel_hi:[0,1,1]
	v_pk_fma_f16 v9, v102, v73, v6 op_sel_hi:[0,1,1]
	;; [unrolled: 1-line block ×3, first 2 shown]
	ds_load_2addr_b64 v[4:7], v57 offset0:64 offset1:96
	s_waitcnt lgkmcnt(0)
	v_pk_fma_f16 v67, v4, v11, v67 op_sel:[0,1,0]
	v_pk_fma_f16 v73, v5, v10, v80 op_sel_hi:[1,0,1]
	v_pk_fma_f16 v76, v5, v10, v76 op_sel:[0,1,0]
	v_pk_fma_f16 v72, v5, v11, v72 op_sel_hi:[1,0,1]
	;; [unrolled: 2-line block ×8, first 2 shown]
	ds_load_b128 v[4:7], v50 offset:16
	ds_load_2addr_b64 v[8:11], v57 offset0:128 offset1:160
	s_waitcnt lgkmcnt(0)
	v_pk_fma_f16 v67, v8, v5, v67 op_sel:[0,1,0]
	v_pk_fma_f16 v73, v9, v4, v73 op_sel_hi:[1,0,1]
	v_pk_fma_f16 v76, v9, v4, v76 op_sel:[0,1,0]
	v_pk_fma_f16 v72, v9, v5, v72 op_sel_hi:[1,0,1]
	;; [unrolled: 2-line block ×8, first 2 shown]
	ds_load_2addr_b64 v[8:11], v57 offset0:192 offset1:224
	s_waitcnt lgkmcnt(0)
	v_pk_fma_f16 v67, v8, v7, v67 op_sel:[0,1,0]
	v_pk_fma_f16 v69, v9, v6, v73 op_sel_hi:[1,0,1]
	v_pk_fma_f16 v73, v9, v6, v76 op_sel:[0,1,0]
	v_pk_fma_f16 v72, v9, v7, v72 op_sel_hi:[1,0,1]
	;; [unrolled: 2-line block ×8, first 2 shown]
	ds_load_b128 v[4:7], v50 offset:32
	ds_load_2addr_b64 v[8:11], v58 offset1:32
	s_waitcnt lgkmcnt(0)
	v_pk_fma_f16 v67, v8, v5, v67 op_sel:[0,1,0]
	v_pk_fma_f16 v69, v9, v4, v69 op_sel_hi:[1,0,1]
	v_pk_fma_f16 v73, v9, v4, v73 op_sel:[0,1,0]
	v_pk_fma_f16 v72, v9, v5, v72 op_sel_hi:[1,0,1]
	;; [unrolled: 2-line block ×8, first 2 shown]
	ds_load_2addr_b64 v[8:11], v58 offset0:64 offset1:96
	s_waitcnt lgkmcnt(0)
	v_pk_fma_f16 v67, v8, v7, v67 op_sel:[0,1,0]
	v_pk_fma_f16 v69, v9, v6, v69 op_sel_hi:[1,0,1]
	v_pk_fma_f16 v73, v9, v6, v73 op_sel:[0,1,0]
	v_pk_fma_f16 v72, v9, v7, v72 op_sel_hi:[1,0,1]
	v_pk_fma_f16 v68, v9, v7, v68 op_sel:[0,1,0]
	v_pk_fma_f16 v76, v10, v6, v76 op_sel_hi:[1,0,1]
	v_pk_fma_f16 v74, v10, v6, v74 op_sel:[0,1,0]
	v_pk_fma_f16 v70, v10, v7, v70 op_sel_hi:[1,0,1]
	v_pk_fma_f16 v66, v10, v7, v66 op_sel:[0,1,0]
	v_pk_fma_f16 v77, v11, v6, v77 op_sel_hi:[1,0,1]
	v_pk_fma_f16 v75, v11, v6, v75 op_sel:[0,1,0]
	v_pk_fma_f16 v71, v11, v7, v71 op_sel_hi:[1,0,1]
	v_pk_fma_f16 v65, v11, v7, v65 op_sel:[0,1,0]
	v_pk_fma_f16 v78, v8, v6, v78 op_sel_hi:[1,0,1]
	v_pk_fma_f16 v79, v8, v6, v4 op_sel:[0,1,0]
	v_pk_fma_f16 v80, v8, v7, v5 op_sel_hi:[1,0,1]
	ds_load_b128 v[4:7], v50 offset:48
	ds_load_2addr_b64 v[8:11], v58 offset0:128 offset1:160
	s_waitcnt lgkmcnt(0)
	v_pk_fma_f16 v67, v8, v5, v67 op_sel:[0,1,0]
	v_pk_fma_f16 v69, v9, v4, v69 op_sel_hi:[1,0,1]
	v_pk_fma_f16 v73, v9, v4, v73 op_sel:[0,1,0]
	v_pk_fma_f16 v72, v9, v5, v72 op_sel_hi:[1,0,1]
	;; [unrolled: 2-line block ×8, first 2 shown]
	ds_load_2addr_b64 v[8:11], v58 offset0:192 offset1:224
	s_waitcnt lgkmcnt(0)
	v_pk_fma_f16 v67, v8, v7, v67 op_sel:[0,1,0]
	v_pk_fma_f16 v69, v9, v6, v69 op_sel_hi:[1,0,1]
	v_pk_fma_f16 v73, v9, v6, v73 op_sel:[0,1,0]
	v_pk_fma_f16 v72, v9, v7, v72 op_sel_hi:[1,0,1]
	;; [unrolled: 2-line block ×8, first 2 shown]
	ds_load_2addr_b64 v[4:7], v59 offset1:32
	ds_load_b128 v[8:11], v50 offset:64
	s_waitcnt lgkmcnt(0)
	v_pk_fma_f16 v67, v4, v9, v67 op_sel:[0,1,0]
	v_pk_fma_f16 v69, v5, v8, v69 op_sel_hi:[1,0,1]
	v_pk_fma_f16 v73, v5, v8, v73 op_sel:[0,1,0]
	v_pk_fma_f16 v72, v5, v9, v72 op_sel_hi:[1,0,1]
	;; [unrolled: 2-line block ×8, first 2 shown]
	ds_load_2addr_b64 v[4:7], v59 offset0:64 offset1:96
	s_waitcnt lgkmcnt(0)
	v_pk_fma_f16 v67, v4, v11, v67 op_sel:[0,1,0]
	v_pk_fma_f16 v69, v5, v10, v69 op_sel_hi:[1,0,1]
	v_pk_fma_f16 v73, v5, v10, v73 op_sel:[0,1,0]
	v_pk_fma_f16 v72, v5, v11, v72 op_sel_hi:[1,0,1]
	;; [unrolled: 2-line block ×8, first 2 shown]
	ds_load_2addr_b64 v[4:7], v59 offset0:128 offset1:160
	ds_load_b128 v[8:11], v50 offset:80
	s_waitcnt lgkmcnt(0)
	v_pk_fma_f16 v67, v4, v9, v67 op_sel:[0,1,0]
	v_pk_fma_f16 v69, v5, v8, v69 op_sel_hi:[1,0,1]
	v_pk_fma_f16 v73, v5, v8, v73 op_sel:[0,1,0]
	v_pk_fma_f16 v72, v5, v9, v72 op_sel_hi:[1,0,1]
	;; [unrolled: 2-line block ×8, first 2 shown]
	ds_load_2addr_b64 v[4:7], v59 offset0:192 offset1:224
	s_waitcnt lgkmcnt(0)
	v_pk_fma_f16 v67, v4, v11, v67 op_sel:[0,1,0]
	v_pk_fma_f16 v69, v5, v10, v69 op_sel_hi:[1,0,1]
	v_pk_fma_f16 v73, v5, v10, v73 op_sel:[0,1,0]
	v_pk_fma_f16 v72, v5, v11, v72 op_sel_hi:[1,0,1]
	v_pk_fma_f16 v68, v5, v11, v68 op_sel:[0,1,0]
	v_pk_fma_f16 v76, v6, v10, v76 op_sel_hi:[1,0,1]
	v_pk_fma_f16 v74, v6, v10, v74 op_sel:[0,1,0]
	v_pk_fma_f16 v70, v6, v11, v70 op_sel_hi:[1,0,1]
	v_pk_fma_f16 v66, v6, v11, v66 op_sel:[0,1,0]
	v_pk_fma_f16 v77, v7, v10, v77 op_sel_hi:[1,0,1]
	v_pk_fma_f16 v75, v7, v10, v75 op_sel:[0,1,0]
	v_pk_fma_f16 v71, v7, v11, v71 op_sel_hi:[1,0,1]
	v_pk_fma_f16 v65, v7, v11, v65 op_sel:[0,1,0]
	v_pk_fma_f16 v78, v4, v10, v78 op_sel_hi:[1,0,1]
	v_pk_fma_f16 v79, v4, v10, v8 op_sel:[0,1,0]
	v_pk_fma_f16 v80, v4, v11, v9 op_sel_hi:[1,0,1]
	ds_load_2addr_b64 v[4:7], v60 offset1:32
	ds_load_b128 v[8:11], v50 offset:96
	s_waitcnt lgkmcnt(0)
	v_pk_fma_f16 v67, v4, v9, v67 op_sel:[0,1,0]
	v_pk_fma_f16 v69, v5, v8, v69 op_sel_hi:[1,0,1]
	v_pk_fma_f16 v73, v5, v8, v73 op_sel:[0,1,0]
	v_pk_fma_f16 v72, v5, v9, v72 op_sel_hi:[1,0,1]
	;; [unrolled: 2-line block ×8, first 2 shown]
	ds_load_2addr_b64 v[4:7], v60 offset0:64 offset1:96
	s_waitcnt lgkmcnt(0)
	v_pk_fma_f16 v67, v4, v11, v67 op_sel:[0,1,0]
	v_pk_fma_f16 v69, v5, v10, v69 op_sel_hi:[1,0,1]
	v_pk_fma_f16 v73, v5, v10, v73 op_sel:[0,1,0]
	v_pk_fma_f16 v72, v5, v11, v72 op_sel_hi:[1,0,1]
	v_pk_fma_f16 v68, v5, v11, v68 op_sel:[0,1,0]
	v_pk_fma_f16 v76, v6, v10, v76 op_sel_hi:[1,0,1]
	v_pk_fma_f16 v74, v6, v10, v74 op_sel:[0,1,0]
	v_pk_fma_f16 v70, v6, v11, v70 op_sel_hi:[1,0,1]
	v_pk_fma_f16 v66, v6, v11, v66 op_sel:[0,1,0]
	v_pk_fma_f16 v77, v7, v10, v77 op_sel_hi:[1,0,1]
	v_pk_fma_f16 v75, v7, v10, v75 op_sel:[0,1,0]
	v_pk_fma_f16 v71, v7, v11, v71 op_sel_hi:[1,0,1]
	v_pk_fma_f16 v65, v7, v11, v65 op_sel:[0,1,0]
	v_pk_fma_f16 v78, v4, v10, v78 op_sel_hi:[1,0,1]
	v_pk_fma_f16 v79, v4, v10, v8 op_sel:[0,1,0]
	v_pk_fma_f16 v80, v4, v11, v9 op_sel_hi:[1,0,1]
	ds_load_2addr_b64 v[4:7], v60 offset0:128 offset1:160
	ds_load_b128 v[8:11], v50 offset:112
	s_waitcnt lgkmcnt(0)
	v_pk_fma_f16 v67, v4, v9, v67 op_sel:[0,1,0]
	v_pk_fma_f16 v69, v5, v8, v69 op_sel_hi:[1,0,1]
	v_pk_fma_f16 v73, v5, v8, v73 op_sel:[0,1,0]
	v_pk_fma_f16 v72, v5, v9, v72 op_sel_hi:[1,0,1]
	;; [unrolled: 2-line block ×8, first 2 shown]
	ds_load_2addr_b64 v[4:7], v60 offset0:192 offset1:224
	s_waitcnt lgkmcnt(0)
	v_pk_fma_f16 v67, v4, v11, v67 op_sel:[0,1,0]
	v_pk_fma_f16 v69, v5, v10, v69 op_sel_hi:[1,0,1]
	v_pk_fma_f16 v73, v5, v10, v73 op_sel:[0,1,0]
	v_pk_fma_f16 v72, v5, v11, v72 op_sel_hi:[1,0,1]
	v_pk_fma_f16 v68, v5, v11, v68 op_sel:[0,1,0]
	v_pk_fma_f16 v76, v6, v10, v76 op_sel_hi:[1,0,1]
	v_pk_fma_f16 v74, v6, v10, v74 op_sel:[0,1,0]
	v_pk_fma_f16 v70, v6, v11, v70 op_sel_hi:[1,0,1]
	v_pk_fma_f16 v66, v6, v11, v66 op_sel:[0,1,0]
	v_pk_fma_f16 v77, v7, v10, v77 op_sel_hi:[1,0,1]
	v_pk_fma_f16 v75, v7, v10, v75 op_sel:[0,1,0]
	v_pk_fma_f16 v71, v7, v11, v71 op_sel_hi:[1,0,1]
	v_pk_fma_f16 v65, v7, v11, v65 op_sel:[0,1,0]
	v_pk_fma_f16 v78, v4, v10, v78 op_sel_hi:[1,0,1]
	v_pk_fma_f16 v79, v4, v10, v8 op_sel:[0,1,0]
	v_pk_fma_f16 v80, v4, v11, v9 op_sel_hi:[1,0,1]
	ds_load_2addr_b64 v[4:7], v61 offset1:32
	ds_load_b128 v[8:11], v50 offset:128
	s_waitcnt lgkmcnt(0)
	v_pk_fma_f16 v67, v4, v9, v67 op_sel:[0,1,0]
	v_pk_fma_f16 v69, v5, v8, v69 op_sel_hi:[1,0,1]
	v_pk_fma_f16 v73, v5, v8, v73 op_sel:[0,1,0]
	v_pk_fma_f16 v72, v5, v9, v72 op_sel_hi:[1,0,1]
	;; [unrolled: 2-line block ×8, first 2 shown]
	ds_load_2addr_b64 v[4:7], v61 offset0:64 offset1:96
	s_waitcnt lgkmcnt(0)
	v_pk_fma_f16 v67, v4, v11, v67 op_sel:[0,1,0]
	v_pk_fma_f16 v69, v5, v10, v69 op_sel_hi:[1,0,1]
	v_pk_fma_f16 v73, v5, v10, v73 op_sel:[0,1,0]
	v_pk_fma_f16 v72, v5, v11, v72 op_sel_hi:[1,0,1]
	;; [unrolled: 2-line block ×8, first 2 shown]
	ds_load_2addr_b64 v[4:7], v61 offset0:128 offset1:160
	ds_load_b128 v[8:11], v50 offset:144
	s_waitcnt lgkmcnt(0)
	v_pk_fma_f16 v67, v4, v9, v67 op_sel:[0,1,0]
	v_pk_fma_f16 v69, v5, v8, v69 op_sel_hi:[1,0,1]
	v_pk_fma_f16 v73, v5, v8, v73 op_sel:[0,1,0]
	v_pk_fma_f16 v72, v5, v9, v72 op_sel_hi:[1,0,1]
	;; [unrolled: 2-line block ×8, first 2 shown]
	ds_load_2addr_b64 v[4:7], v61 offset0:192 offset1:224
	s_waitcnt lgkmcnt(0)
	v_pk_fma_f16 v67, v4, v11, v67 op_sel:[0,1,0]
	v_pk_fma_f16 v69, v5, v10, v69 op_sel_hi:[1,0,1]
	v_pk_fma_f16 v73, v5, v10, v73 op_sel:[0,1,0]
	v_pk_fma_f16 v72, v5, v11, v72 op_sel_hi:[1,0,1]
	;; [unrolled: 2-line block ×8, first 2 shown]
	ds_load_2addr_b64 v[4:7], v62 offset1:32
	ds_load_b128 v[8:11], v50 offset:160
	s_waitcnt lgkmcnt(0)
	v_pk_fma_f16 v67, v4, v9, v67 op_sel:[0,1,0]
	v_pk_fma_f16 v69, v5, v8, v69 op_sel_hi:[1,0,1]
	v_pk_fma_f16 v73, v5, v8, v73 op_sel:[0,1,0]
	v_pk_fma_f16 v72, v5, v9, v72 op_sel_hi:[1,0,1]
	;; [unrolled: 2-line block ×8, first 2 shown]
	ds_load_2addr_b64 v[4:7], v62 offset0:64 offset1:96
	s_waitcnt lgkmcnt(0)
	v_pk_fma_f16 v67, v4, v11, v67 op_sel:[0,1,0]
	v_pk_fma_f16 v69, v5, v10, v69 op_sel_hi:[1,0,1]
	v_pk_fma_f16 v73, v5, v10, v73 op_sel:[0,1,0]
	v_pk_fma_f16 v72, v5, v11, v72 op_sel_hi:[1,0,1]
	;; [unrolled: 2-line block ×8, first 2 shown]
	ds_load_2addr_b64 v[4:7], v62 offset0:128 offset1:160
	ds_load_b128 v[8:11], v50 offset:176
	s_waitcnt lgkmcnt(0)
	v_pk_fma_f16 v67, v4, v9, v67 op_sel:[0,1,0]
	v_pk_fma_f16 v69, v5, v8, v69 op_sel_hi:[1,0,1]
	v_pk_fma_f16 v73, v5, v8, v73 op_sel:[0,1,0]
	v_pk_fma_f16 v72, v5, v9, v72 op_sel_hi:[1,0,1]
	;; [unrolled: 2-line block ×8, first 2 shown]
	ds_load_2addr_b64 v[4:7], v62 offset0:192 offset1:224
	s_waitcnt lgkmcnt(0)
	v_pk_fma_f16 v67, v4, v11, v67 op_sel:[0,1,0]
	v_pk_fma_f16 v69, v5, v10, v69 op_sel_hi:[1,0,1]
	v_pk_fma_f16 v73, v5, v10, v73 op_sel:[0,1,0]
	v_pk_fma_f16 v72, v5, v11, v72 op_sel_hi:[1,0,1]
	;; [unrolled: 2-line block ×8, first 2 shown]
	ds_load_2addr_b64 v[4:7], v63 offset1:32
	ds_load_b128 v[8:11], v50 offset:192
	s_waitcnt lgkmcnt(0)
	v_pk_fma_f16 v67, v4, v9, v67 op_sel:[0,1,0]
	v_pk_fma_f16 v69, v5, v8, v69 op_sel_hi:[1,0,1]
	v_pk_fma_f16 v73, v5, v8, v73 op_sel:[0,1,0]
	v_pk_fma_f16 v72, v5, v9, v72 op_sel_hi:[1,0,1]
	;; [unrolled: 2-line block ×8, first 2 shown]
	ds_load_2addr_b64 v[4:7], v63 offset0:64 offset1:96
	s_waitcnt lgkmcnt(0)
	v_pk_fma_f16 v67, v4, v11, v67 op_sel:[0,1,0]
	v_pk_fma_f16 v69, v5, v10, v69 op_sel_hi:[1,0,1]
	v_pk_fma_f16 v73, v5, v10, v73 op_sel:[0,1,0]
	v_pk_fma_f16 v72, v5, v11, v72 op_sel_hi:[1,0,1]
	v_pk_fma_f16 v68, v5, v11, v68 op_sel:[0,1,0]
	v_pk_fma_f16 v76, v6, v10, v76 op_sel_hi:[1,0,1]
	v_pk_fma_f16 v74, v6, v10, v74 op_sel:[0,1,0]
	v_pk_fma_f16 v70, v6, v11, v70 op_sel_hi:[1,0,1]
	v_pk_fma_f16 v66, v6, v11, v66 op_sel:[0,1,0]
	v_pk_fma_f16 v77, v7, v10, v77 op_sel_hi:[1,0,1]
	v_pk_fma_f16 v75, v7, v10, v75 op_sel:[0,1,0]
	v_pk_fma_f16 v71, v7, v11, v71 op_sel_hi:[1,0,1]
	v_pk_fma_f16 v65, v7, v11, v65 op_sel:[0,1,0]
	v_pk_fma_f16 v78, v4, v10, v78 op_sel_hi:[1,0,1]
	v_pk_fma_f16 v79, v4, v10, v8 op_sel:[0,1,0]
	v_pk_fma_f16 v80, v4, v11, v9 op_sel_hi:[1,0,1]
	ds_load_2addr_b64 v[4:7], v63 offset0:128 offset1:160
	ds_load_b128 v[8:11], v50 offset:208
	s_waitcnt lgkmcnt(0)
	v_pk_fma_f16 v67, v4, v9, v67 op_sel:[0,1,0]
	v_pk_fma_f16 v69, v5, v8, v69 op_sel_hi:[1,0,1]
	v_pk_fma_f16 v73, v5, v8, v73 op_sel:[0,1,0]
	v_pk_fma_f16 v72, v5, v9, v72 op_sel_hi:[1,0,1]
	;; [unrolled: 2-line block ×8, first 2 shown]
	ds_load_2addr_b64 v[4:7], v63 offset0:192 offset1:224
	s_waitcnt lgkmcnt(0)
	v_pk_fma_f16 v67, v4, v11, v67 op_sel:[0,1,0]
	v_pk_fma_f16 v69, v5, v10, v69 op_sel_hi:[1,0,1]
	v_pk_fma_f16 v73, v5, v10, v73 op_sel:[0,1,0]
	v_pk_fma_f16 v72, v5, v11, v72 op_sel_hi:[1,0,1]
	;; [unrolled: 2-line block ×8, first 2 shown]
	ds_load_2addr_b64 v[4:7], v64 offset1:32
	ds_load_b128 v[8:11], v50 offset:224
	s_waitcnt lgkmcnt(0)
	v_pk_fma_f16 v67, v4, v9, v67 op_sel:[0,1,0]
	v_pk_fma_f16 v69, v5, v8, v69 op_sel_hi:[1,0,1]
	v_pk_fma_f16 v73, v5, v8, v73 op_sel:[0,1,0]
	v_pk_fma_f16 v72, v5, v9, v72 op_sel_hi:[1,0,1]
	;; [unrolled: 2-line block ×8, first 2 shown]
	ds_load_2addr_b64 v[4:7], v64 offset0:64 offset1:96
	s_waitcnt lgkmcnt(0)
	v_pk_fma_f16 v67, v4, v11, v67 op_sel:[0,1,0]
	v_pk_fma_f16 v69, v5, v10, v69 op_sel_hi:[1,0,1]
	v_pk_fma_f16 v73, v5, v10, v73 op_sel:[0,1,0]
	v_pk_fma_f16 v72, v5, v11, v72 op_sel_hi:[1,0,1]
	;; [unrolled: 2-line block ×8, first 2 shown]
	ds_load_2addr_b64 v[4:7], v64 offset0:128 offset1:160
	ds_load_b128 v[8:11], v50 offset:240
	s_waitcnt lgkmcnt(0)
	v_pk_fma_f16 v67, v4, v9, v67 op_sel:[0,1,0]
	v_pk_fma_f16 v69, v5, v8, v69 op_sel_hi:[1,0,1]
	v_pk_fma_f16 v73, v5, v8, v73 op_sel:[0,1,0]
	v_pk_fma_f16 v72, v5, v9, v72 op_sel_hi:[1,0,1]
	;; [unrolled: 2-line block ×8, first 2 shown]
	ds_load_2addr_b64 v[4:7], v64 offset0:192 offset1:224
	s_waitcnt lgkmcnt(0)
	s_barrier
	buffer_gl0_inv
	v_pk_fma_f16 v67, v4, v11, v67 op_sel:[0,1,0]
	v_pk_fma_f16 v78, v4, v10, v78 op_sel_hi:[1,0,1]
	v_pk_fma_f16 v79, v4, v10, v8 op_sel:[0,1,0]
	v_pk_fma_f16 v80, v4, v11, v9 op_sel_hi:[1,0,1]
	v_add_co_u32 v4, vcc_lo, s2, v23
	v_pk_fma_f16 v69, v5, v10, v69 op_sel_hi:[1,0,1]
	v_pk_fma_f16 v73, v5, v10, v73 op_sel:[0,1,0]
	v_pk_fma_f16 v72, v5, v11, v72 op_sel_hi:[1,0,1]
	v_pk_fma_f16 v68, v5, v11, v68 op_sel:[0,1,0]
	v_add_co_ci_u32_e32 v5, vcc_lo, s3, v24, vcc_lo
	v_add_co_u32 v4, vcc_lo, v4, v47
	v_pk_fma_f16 v76, v6, v10, v76 op_sel_hi:[1,0,1]
	s_delay_alu instid0(VALU_DEP_3)
	v_add_co_ci_u32_e32 v5, vcc_lo, 0, v5, vcc_lo
	v_pk_fma_f16 v74, v6, v10, v74 op_sel:[0,1,0]
	v_pk_fma_f16 v70, v6, v11, v70 op_sel_hi:[1,0,1]
	v_pk_fma_f16 v66, v6, v11, v66 op_sel:[0,1,0]
	v_pk_fma_f16 v77, v7, v10, v77 op_sel_hi:[1,0,1]
	;; [unrolled: 2-line block ×3, first 2 shown]
	v_pk_fma_f16 v65, v7, v11, v65 op_sel:[0,1,0]
	global_load_b128 v[4:7], v[4:5], off
	s_waitcnt vmcnt(0)
	ds_store_b128 v51, v[4:7]
	v_add_co_u32 v4, vcc_lo, s2, v25
	v_add_co_ci_u32_e32 v5, vcc_lo, s3, v26, vcc_lo
	s_delay_alu instid0(VALU_DEP_2) | instskip(NEXT) | instid1(VALU_DEP_2)
	v_add_co_u32 v4, vcc_lo, v4, v47
	v_add_co_ci_u32_e32 v5, vcc_lo, 0, v5, vcc_lo
	global_load_b128 v[4:7], v[4:5], off
	s_waitcnt vmcnt(0)
	ds_store_b128 v52, v[4:7]
	v_add_co_u32 v4, vcc_lo, s2, v27
	v_add_co_ci_u32_e32 v5, vcc_lo, s3, v28, vcc_lo
	s_delay_alu instid0(VALU_DEP_2) | instskip(NEXT) | instid1(VALU_DEP_2)
	v_add_co_u32 v4, vcc_lo, v4, v47
	v_add_co_ci_u32_e32 v5, vcc_lo, 0, v5, vcc_lo
	global_load_b128 v[4:7], v[4:5], off
	s_waitcnt vmcnt(0)
	ds_store_b128 v53, v[4:7]
	v_add_co_u32 v4, vcc_lo, s2, v29
	v_add_co_ci_u32_e32 v5, vcc_lo, s3, v30, vcc_lo
	s_or_b32 s2, s9, 64
	s_delay_alu instid0(VALU_DEP_2) | instskip(NEXT) | instid1(VALU_DEP_2)
	v_add_co_u32 v4, vcc_lo, v4, v47
	v_add_co_ci_u32_e32 v5, vcc_lo, 0, v5, vcc_lo
	s_mul_hi_i32 s3, s2, s16
	s_mul_i32 s2, s2, s16
	global_load_b128 v[4:7], v[4:5], off
	s_lshl_b64 s[2:3], s[2:3], 2
	s_delay_alu instid0(SALU_CYCLE_1)
	s_add_u32 s2, s20, s2
	s_addc_u32 s3, s21, s3
	s_waitcnt vmcnt(0)
	ds_store_b128 v54, v[4:7]
	s_waitcnt lgkmcnt(0)
	s_barrier
	buffer_gl0_inv
	ds_load_2addr_b64 v[4:7], v57 offset1:32
	ds_load_b128 v[8:11], v50 offset:256
	s_waitcnt lgkmcnt(0)
	v_pk_fma_f16 v78, v4, v8, v78 op_sel_hi:[1,0,1]
	v_pk_fma_f16 v79, v4, v8, v79 op_sel:[0,1,0]
	v_pk_fma_f16 v80, v4, v9, v80 op_sel_hi:[1,0,1]
	v_pk_fma_f16 v67, v4, v9, v67 op_sel:[0,1,0]
	;; [unrolled: 2-line block ×8, first 2 shown]
	ds_load_2addr_b64 v[4:7], v57 offset0:64 offset1:96
	s_waitcnt lgkmcnt(0)
	v_pk_fma_f16 v65, v4, v10, v78 op_sel_hi:[1,0,1]
	v_pk_fma_f16 v75, v4, v10, v79 op_sel:[0,1,0]
	v_pk_fma_f16 v78, v4, v11, v80 op_sel_hi:[1,0,1]
	v_pk_fma_f16 v67, v4, v11, v67 op_sel:[0,1,0]
	;; [unrolled: 2-line block ×8, first 2 shown]
	ds_load_b128 v[4:7], v50 offset:272
	ds_load_2addr_b64 v[8:11], v57 offset0:128 offset1:160
	s_waitcnt lgkmcnt(0)
	v_pk_fma_f16 v65, v8, v4, v65 op_sel_hi:[1,0,1]
	v_pk_fma_f16 v75, v8, v4, v75 op_sel:[0,1,0]
	v_pk_fma_f16 v78, v8, v5, v78 op_sel_hi:[1,0,1]
	v_pk_fma_f16 v67, v8, v5, v67 op_sel:[0,1,0]
	;; [unrolled: 2-line block ×8, first 2 shown]
	ds_load_2addr_b64 v[8:11], v57 offset0:192 offset1:224
	s_waitcnt lgkmcnt(0)
	v_pk_fma_f16 v65, v8, v6, v65 op_sel_hi:[1,0,1]
	v_pk_fma_f16 v75, v8, v6, v75 op_sel:[0,1,0]
	v_pk_fma_f16 v78, v8, v7, v78 op_sel_hi:[1,0,1]
	v_pk_fma_f16 v67, v8, v7, v67 op_sel:[0,1,0]
	;; [unrolled: 2-line block ×8, first 2 shown]
	ds_load_b128 v[4:7], v50 offset:288
	ds_load_2addr_b64 v[8:11], v58 offset1:32
	s_waitcnt lgkmcnt(0)
	v_pk_fma_f16 v65, v8, v4, v65 op_sel_hi:[1,0,1]
	v_pk_fma_f16 v75, v8, v4, v75 op_sel:[0,1,0]
	v_pk_fma_f16 v78, v8, v5, v78 op_sel_hi:[1,0,1]
	v_pk_fma_f16 v67, v8, v5, v67 op_sel:[0,1,0]
	;; [unrolled: 2-line block ×8, first 2 shown]
	ds_load_2addr_b64 v[8:11], v58 offset0:64 offset1:96
	s_waitcnt lgkmcnt(0)
	v_pk_fma_f16 v65, v8, v6, v65 op_sel_hi:[1,0,1]
	v_pk_fma_f16 v75, v8, v6, v75 op_sel:[0,1,0]
	v_pk_fma_f16 v78, v8, v7, v78 op_sel_hi:[1,0,1]
	v_pk_fma_f16 v67, v8, v7, v67 op_sel:[0,1,0]
	;; [unrolled: 2-line block ×8, first 2 shown]
	ds_load_b128 v[4:7], v50 offset:304
	ds_load_2addr_b64 v[8:11], v58 offset0:128 offset1:160
	s_waitcnt lgkmcnt(0)
	v_pk_fma_f16 v65, v8, v4, v65 op_sel_hi:[1,0,1]
	v_pk_fma_f16 v75, v8, v4, v75 op_sel:[0,1,0]
	v_pk_fma_f16 v78, v8, v5, v78 op_sel_hi:[1,0,1]
	v_pk_fma_f16 v67, v8, v5, v67 op_sel:[0,1,0]
	v_pk_fma_f16 v69, v9, v4, v69 op_sel_hi:[1,0,1]
	v_pk_fma_f16 v73, v9, v4, v73 op_sel:[0,1,0]
	v_pk_fma_f16 v72, v9, v5, v72 op_sel_hi:[1,0,1]
	v_pk_fma_f16 v68, v9, v5, v68 op_sel:[0,1,0]
	v_pk_fma_f16 v76, v10, v4, v76 op_sel_hi:[1,0,1]
	v_pk_fma_f16 v74, v10, v4, v74 op_sel:[0,1,0]
	v_pk_fma_f16 v70, v10, v5, v70 op_sel_hi:[1,0,1]
	v_pk_fma_f16 v66, v10, v5, v66 op_sel:[0,1,0]
	v_pk_fma_f16 v77, v11, v4, v77 op_sel_hi:[1,0,1]
	v_pk_fma_f16 v4, v11, v4, v79 op_sel:[0,1,0]
	v_pk_fma_f16 v71, v11, v5, v71 op_sel_hi:[1,0,1]
	v_pk_fma_f16 v5, v11, v5, v80 op_sel:[0,1,0]
	ds_load_2addr_b64 v[8:11], v58 offset0:192 offset1:224
	s_waitcnt lgkmcnt(0)
	v_pk_fma_f16 v65, v8, v6, v65 op_sel_hi:[1,0,1]
	v_pk_fma_f16 v75, v8, v6, v75 op_sel:[0,1,0]
	v_pk_fma_f16 v78, v8, v7, v78 op_sel_hi:[1,0,1]
	v_pk_fma_f16 v67, v8, v7, v67 op_sel:[0,1,0]
	;; [unrolled: 2-line block ×8, first 2 shown]
	ds_load_2addr_b64 v[4:7], v59 offset1:32
	ds_load_b128 v[8:11], v50 offset:320
	s_waitcnt lgkmcnt(0)
	v_pk_fma_f16 v65, v4, v8, v65 op_sel_hi:[1,0,1]
	v_pk_fma_f16 v75, v4, v8, v75 op_sel:[0,1,0]
	v_pk_fma_f16 v78, v4, v9, v78 op_sel_hi:[1,0,1]
	v_pk_fma_f16 v67, v4, v9, v67 op_sel:[0,1,0]
	v_pk_fma_f16 v69, v5, v8, v69 op_sel_hi:[1,0,1]
	v_pk_fma_f16 v73, v5, v8, v73 op_sel:[0,1,0]
	v_pk_fma_f16 v72, v5, v9, v72 op_sel_hi:[1,0,1]
	v_pk_fma_f16 v68, v5, v9, v68 op_sel:[0,1,0]
	v_pk_fma_f16 v76, v6, v8, v76 op_sel_hi:[1,0,1]
	v_pk_fma_f16 v74, v6, v8, v74 op_sel:[0,1,0]
	v_pk_fma_f16 v70, v6, v9, v70 op_sel_hi:[1,0,1]
	v_pk_fma_f16 v66, v6, v9, v66 op_sel:[0,1,0]
	v_pk_fma_f16 v77, v7, v8, v77 op_sel_hi:[1,0,1]
	v_pk_fma_f16 v8, v7, v8, v79 op_sel:[0,1,0]
	v_pk_fma_f16 v71, v7, v9, v71 op_sel_hi:[1,0,1]
	v_pk_fma_f16 v9, v7, v9, v80 op_sel:[0,1,0]
	ds_load_2addr_b64 v[4:7], v59 offset0:64 offset1:96
	s_waitcnt lgkmcnt(0)
	v_pk_fma_f16 v65, v4, v10, v65 op_sel_hi:[1,0,1]
	v_pk_fma_f16 v75, v4, v10, v75 op_sel:[0,1,0]
	v_pk_fma_f16 v78, v4, v11, v78 op_sel_hi:[1,0,1]
	v_pk_fma_f16 v67, v4, v11, v67 op_sel:[0,1,0]
	;; [unrolled: 2-line block ×8, first 2 shown]
	ds_load_2addr_b64 v[4:7], v59 offset0:128 offset1:160
	ds_load_b128 v[8:11], v50 offset:336
	s_waitcnt lgkmcnt(0)
	v_pk_fma_f16 v65, v4, v8, v65 op_sel_hi:[1,0,1]
	v_pk_fma_f16 v75, v4, v8, v75 op_sel:[0,1,0]
	v_pk_fma_f16 v78, v4, v9, v78 op_sel_hi:[1,0,1]
	v_pk_fma_f16 v67, v4, v9, v67 op_sel:[0,1,0]
	;; [unrolled: 2-line block ×8, first 2 shown]
	ds_load_2addr_b64 v[4:7], v59 offset0:192 offset1:224
	s_waitcnt lgkmcnt(0)
	v_pk_fma_f16 v65, v4, v10, v65 op_sel_hi:[1,0,1]
	v_pk_fma_f16 v75, v4, v10, v75 op_sel:[0,1,0]
	v_pk_fma_f16 v78, v4, v11, v78 op_sel_hi:[1,0,1]
	v_pk_fma_f16 v67, v4, v11, v67 op_sel:[0,1,0]
	;; [unrolled: 2-line block ×8, first 2 shown]
	ds_load_2addr_b64 v[4:7], v60 offset1:32
	ds_load_b128 v[8:11], v50 offset:352
	s_waitcnt lgkmcnt(0)
	v_pk_fma_f16 v65, v4, v8, v65 op_sel_hi:[1,0,1]
	v_pk_fma_f16 v75, v4, v8, v75 op_sel:[0,1,0]
	v_pk_fma_f16 v78, v4, v9, v78 op_sel_hi:[1,0,1]
	v_pk_fma_f16 v67, v4, v9, v67 op_sel:[0,1,0]
	v_pk_fma_f16 v69, v5, v8, v69 op_sel_hi:[1,0,1]
	v_pk_fma_f16 v73, v5, v8, v73 op_sel:[0,1,0]
	v_pk_fma_f16 v72, v5, v9, v72 op_sel_hi:[1,0,1]
	v_pk_fma_f16 v68, v5, v9, v68 op_sel:[0,1,0]
	v_pk_fma_f16 v76, v6, v8, v76 op_sel_hi:[1,0,1]
	v_pk_fma_f16 v74, v6, v8, v74 op_sel:[0,1,0]
	v_pk_fma_f16 v70, v6, v9, v70 op_sel_hi:[1,0,1]
	v_pk_fma_f16 v66, v6, v9, v66 op_sel:[0,1,0]
	v_pk_fma_f16 v77, v7, v8, v77 op_sel_hi:[1,0,1]
	v_pk_fma_f16 v8, v7, v8, v79 op_sel:[0,1,0]
	v_pk_fma_f16 v71, v7, v9, v71 op_sel_hi:[1,0,1]
	v_pk_fma_f16 v9, v7, v9, v80 op_sel:[0,1,0]
	ds_load_2addr_b64 v[4:7], v60 offset0:64 offset1:96
	s_waitcnt lgkmcnt(0)
	v_pk_fma_f16 v65, v4, v10, v65 op_sel_hi:[1,0,1]
	v_pk_fma_f16 v75, v4, v10, v75 op_sel:[0,1,0]
	v_pk_fma_f16 v78, v4, v11, v78 op_sel_hi:[1,0,1]
	v_pk_fma_f16 v67, v4, v11, v67 op_sel:[0,1,0]
	;; [unrolled: 2-line block ×8, first 2 shown]
	ds_load_2addr_b64 v[4:7], v60 offset0:128 offset1:160
	ds_load_b128 v[8:11], v50 offset:368
	s_waitcnt lgkmcnt(0)
	v_pk_fma_f16 v65, v4, v8, v65 op_sel_hi:[1,0,1]
	v_pk_fma_f16 v75, v4, v8, v75 op_sel:[0,1,0]
	v_pk_fma_f16 v78, v4, v9, v78 op_sel_hi:[1,0,1]
	v_pk_fma_f16 v67, v4, v9, v67 op_sel:[0,1,0]
	;; [unrolled: 2-line block ×8, first 2 shown]
	ds_load_2addr_b64 v[4:7], v60 offset0:192 offset1:224
	s_waitcnt lgkmcnt(0)
	v_pk_fma_f16 v65, v4, v10, v65 op_sel_hi:[1,0,1]
	v_pk_fma_f16 v75, v4, v10, v75 op_sel:[0,1,0]
	v_pk_fma_f16 v78, v4, v11, v78 op_sel_hi:[1,0,1]
	v_pk_fma_f16 v67, v4, v11, v67 op_sel:[0,1,0]
	;; [unrolled: 2-line block ×8, first 2 shown]
	ds_load_2addr_b64 v[4:7], v61 offset1:32
	ds_load_b128 v[8:11], v50 offset:384
	s_waitcnt lgkmcnt(0)
	v_pk_fma_f16 v65, v4, v8, v65 op_sel_hi:[1,0,1]
	v_pk_fma_f16 v75, v4, v8, v75 op_sel:[0,1,0]
	v_pk_fma_f16 v78, v4, v9, v78 op_sel_hi:[1,0,1]
	v_pk_fma_f16 v67, v4, v9, v67 op_sel:[0,1,0]
	;; [unrolled: 2-line block ×8, first 2 shown]
	ds_load_2addr_b64 v[4:7], v61 offset0:64 offset1:96
	s_waitcnt lgkmcnt(0)
	v_pk_fma_f16 v65, v4, v10, v65 op_sel_hi:[1,0,1]
	v_pk_fma_f16 v75, v4, v10, v75 op_sel:[0,1,0]
	v_pk_fma_f16 v78, v4, v11, v78 op_sel_hi:[1,0,1]
	v_pk_fma_f16 v67, v4, v11, v67 op_sel:[0,1,0]
	v_pk_fma_f16 v69, v5, v10, v69 op_sel_hi:[1,0,1]
	v_pk_fma_f16 v73, v5, v10, v73 op_sel:[0,1,0]
	v_pk_fma_f16 v72, v5, v11, v72 op_sel_hi:[1,0,1]
	v_pk_fma_f16 v68, v5, v11, v68 op_sel:[0,1,0]
	v_pk_fma_f16 v76, v6, v10, v76 op_sel_hi:[1,0,1]
	v_pk_fma_f16 v74, v6, v10, v74 op_sel:[0,1,0]
	v_pk_fma_f16 v70, v6, v11, v70 op_sel_hi:[1,0,1]
	v_pk_fma_f16 v66, v6, v11, v66 op_sel:[0,1,0]
	v_pk_fma_f16 v77, v7, v10, v77 op_sel_hi:[1,0,1]
	v_pk_fma_f16 v79, v7, v10, v8 op_sel:[0,1,0]
	v_pk_fma_f16 v71, v7, v11, v71 op_sel_hi:[1,0,1]
	v_pk_fma_f16 v80, v7, v11, v9 op_sel:[0,1,0]
	ds_load_2addr_b64 v[4:7], v61 offset0:128 offset1:160
	ds_load_b128 v[8:11], v50 offset:400
	s_waitcnt lgkmcnt(0)
	v_pk_fma_f16 v65, v4, v8, v65 op_sel_hi:[1,0,1]
	v_pk_fma_f16 v75, v4, v8, v75 op_sel:[0,1,0]
	v_pk_fma_f16 v78, v4, v9, v78 op_sel_hi:[1,0,1]
	v_pk_fma_f16 v67, v4, v9, v67 op_sel:[0,1,0]
	;; [unrolled: 2-line block ×8, first 2 shown]
	ds_load_2addr_b64 v[4:7], v61 offset0:192 offset1:224
	s_waitcnt lgkmcnt(0)
	v_pk_fma_f16 v65, v4, v10, v65 op_sel_hi:[1,0,1]
	v_pk_fma_f16 v75, v4, v10, v75 op_sel:[0,1,0]
	v_pk_fma_f16 v78, v4, v11, v78 op_sel_hi:[1,0,1]
	v_pk_fma_f16 v67, v4, v11, v67 op_sel:[0,1,0]
	;; [unrolled: 2-line block ×8, first 2 shown]
	ds_load_2addr_b64 v[4:7], v62 offset1:32
	ds_load_b128 v[8:11], v50 offset:416
	s_waitcnt lgkmcnt(0)
	v_pk_fma_f16 v65, v4, v8, v65 op_sel_hi:[1,0,1]
	v_pk_fma_f16 v75, v4, v8, v75 op_sel:[0,1,0]
	v_pk_fma_f16 v78, v4, v9, v78 op_sel_hi:[1,0,1]
	v_pk_fma_f16 v67, v4, v9, v67 op_sel:[0,1,0]
	;; [unrolled: 2-line block ×8, first 2 shown]
	ds_load_2addr_b64 v[4:7], v62 offset0:64 offset1:96
	s_waitcnt lgkmcnt(0)
	v_pk_fma_f16 v65, v4, v10, v65 op_sel_hi:[1,0,1]
	v_pk_fma_f16 v75, v4, v10, v75 op_sel:[0,1,0]
	v_pk_fma_f16 v78, v4, v11, v78 op_sel_hi:[1,0,1]
	v_pk_fma_f16 v67, v4, v11, v67 op_sel:[0,1,0]
	;; [unrolled: 2-line block ×8, first 2 shown]
	ds_load_2addr_b64 v[4:7], v62 offset0:128 offset1:160
	ds_load_b128 v[8:11], v50 offset:432
	s_waitcnt lgkmcnt(0)
	v_pk_fma_f16 v65, v4, v8, v65 op_sel_hi:[1,0,1]
	v_pk_fma_f16 v75, v4, v8, v75 op_sel:[0,1,0]
	v_pk_fma_f16 v78, v4, v9, v78 op_sel_hi:[1,0,1]
	v_pk_fma_f16 v67, v4, v9, v67 op_sel:[0,1,0]
	v_pk_fma_f16 v69, v5, v8, v69 op_sel_hi:[1,0,1]
	v_pk_fma_f16 v73, v5, v8, v73 op_sel:[0,1,0]
	v_pk_fma_f16 v72, v5, v9, v72 op_sel_hi:[1,0,1]
	v_pk_fma_f16 v68, v5, v9, v68 op_sel:[0,1,0]
	v_pk_fma_f16 v76, v6, v8, v76 op_sel_hi:[1,0,1]
	v_pk_fma_f16 v74, v6, v8, v74 op_sel:[0,1,0]
	v_pk_fma_f16 v70, v6, v9, v70 op_sel_hi:[1,0,1]
	v_pk_fma_f16 v66, v6, v9, v66 op_sel:[0,1,0]
	v_pk_fma_f16 v77, v7, v8, v77 op_sel_hi:[1,0,1]
	v_pk_fma_f16 v8, v7, v8, v79 op_sel:[0,1,0]
	v_pk_fma_f16 v71, v7, v9, v71 op_sel_hi:[1,0,1]
	v_pk_fma_f16 v9, v7, v9, v80 op_sel:[0,1,0]
	ds_load_2addr_b64 v[4:7], v62 offset0:192 offset1:224
	s_waitcnt lgkmcnt(0)
	v_pk_fma_f16 v65, v4, v10, v65 op_sel_hi:[1,0,1]
	v_pk_fma_f16 v75, v4, v10, v75 op_sel:[0,1,0]
	v_pk_fma_f16 v78, v4, v11, v78 op_sel_hi:[1,0,1]
	v_pk_fma_f16 v67, v4, v11, v67 op_sel:[0,1,0]
	v_pk_fma_f16 v69, v5, v10, v69 op_sel_hi:[1,0,1]
	v_pk_fma_f16 v73, v5, v10, v73 op_sel:[0,1,0]
	v_pk_fma_f16 v72, v5, v11, v72 op_sel_hi:[1,0,1]
	v_pk_fma_f16 v68, v5, v11, v68 op_sel:[0,1,0]
	v_pk_fma_f16 v76, v6, v10, v76 op_sel_hi:[1,0,1]
	v_pk_fma_f16 v74, v6, v10, v74 op_sel:[0,1,0]
	v_pk_fma_f16 v70, v6, v11, v70 op_sel_hi:[1,0,1]
	v_pk_fma_f16 v66, v6, v11, v66 op_sel:[0,1,0]
	v_pk_fma_f16 v77, v7, v10, v77 op_sel_hi:[1,0,1]
	v_pk_fma_f16 v79, v7, v10, v8 op_sel:[0,1,0]
	v_pk_fma_f16 v71, v7, v11, v71 op_sel_hi:[1,0,1]
	v_pk_fma_f16 v80, v7, v11, v9 op_sel:[0,1,0]
	ds_load_2addr_b64 v[4:7], v63 offset1:32
	ds_load_b128 v[8:11], v50 offset:448
	s_waitcnt lgkmcnt(0)
	v_pk_fma_f16 v65, v4, v8, v65 op_sel_hi:[1,0,1]
	v_pk_fma_f16 v75, v4, v8, v75 op_sel:[0,1,0]
	v_pk_fma_f16 v78, v4, v9, v78 op_sel_hi:[1,0,1]
	v_pk_fma_f16 v67, v4, v9, v67 op_sel:[0,1,0]
	;; [unrolled: 2-line block ×8, first 2 shown]
	ds_load_2addr_b64 v[4:7], v63 offset0:64 offset1:96
	s_waitcnt lgkmcnt(0)
	v_pk_fma_f16 v65, v4, v10, v65 op_sel_hi:[1,0,1]
	v_pk_fma_f16 v75, v4, v10, v75 op_sel:[0,1,0]
	v_pk_fma_f16 v78, v4, v11, v78 op_sel_hi:[1,0,1]
	v_pk_fma_f16 v67, v4, v11, v67 op_sel:[0,1,0]
	;; [unrolled: 2-line block ×8, first 2 shown]
	ds_load_2addr_b64 v[4:7], v63 offset0:128 offset1:160
	ds_load_b128 v[8:11], v50 offset:464
	s_waitcnt lgkmcnt(0)
	v_pk_fma_f16 v65, v4, v8, v65 op_sel_hi:[1,0,1]
	v_pk_fma_f16 v75, v4, v8, v75 op_sel:[0,1,0]
	v_pk_fma_f16 v78, v4, v9, v78 op_sel_hi:[1,0,1]
	v_pk_fma_f16 v67, v4, v9, v67 op_sel:[0,1,0]
	v_pk_fma_f16 v69, v5, v8, v69 op_sel_hi:[1,0,1]
	v_pk_fma_f16 v73, v5, v8, v73 op_sel:[0,1,0]
	v_pk_fma_f16 v72, v5, v9, v72 op_sel_hi:[1,0,1]
	v_pk_fma_f16 v68, v5, v9, v68 op_sel:[0,1,0]
	v_pk_fma_f16 v76, v6, v8, v76 op_sel_hi:[1,0,1]
	v_pk_fma_f16 v74, v6, v8, v74 op_sel:[0,1,0]
	v_pk_fma_f16 v70, v6, v9, v70 op_sel_hi:[1,0,1]
	v_pk_fma_f16 v66, v6, v9, v66 op_sel:[0,1,0]
	v_pk_fma_f16 v77, v7, v8, v77 op_sel_hi:[1,0,1]
	v_pk_fma_f16 v8, v7, v8, v79 op_sel:[0,1,0]
	v_pk_fma_f16 v71, v7, v9, v71 op_sel_hi:[1,0,1]
	v_pk_fma_f16 v9, v7, v9, v80 op_sel:[0,1,0]
	ds_load_2addr_b64 v[4:7], v63 offset0:192 offset1:224
	s_waitcnt lgkmcnt(0)
	v_pk_fma_f16 v65, v4, v10, v65 op_sel_hi:[1,0,1]
	v_pk_fma_f16 v75, v4, v10, v75 op_sel:[0,1,0]
	v_pk_fma_f16 v78, v4, v11, v78 op_sel_hi:[1,0,1]
	v_pk_fma_f16 v67, v4, v11, v67 op_sel:[0,1,0]
	;; [unrolled: 2-line block ×8, first 2 shown]
	ds_load_2addr_b64 v[4:7], v64 offset1:32
	ds_load_b128 v[8:11], v50 offset:480
	s_waitcnt lgkmcnt(0)
	v_pk_fma_f16 v65, v4, v8, v65 op_sel_hi:[1,0,1]
	v_pk_fma_f16 v75, v4, v8, v75 op_sel:[0,1,0]
	v_pk_fma_f16 v78, v4, v9, v78 op_sel_hi:[1,0,1]
	v_pk_fma_f16 v67, v4, v9, v67 op_sel:[0,1,0]
	;; [unrolled: 2-line block ×8, first 2 shown]
	ds_load_2addr_b64 v[4:7], v64 offset0:64 offset1:96
	s_waitcnt lgkmcnt(0)
	v_pk_fma_f16 v65, v4, v10, v65 op_sel_hi:[1,0,1]
	v_pk_fma_f16 v75, v4, v10, v75 op_sel:[0,1,0]
	v_pk_fma_f16 v78, v4, v11, v78 op_sel_hi:[1,0,1]
	v_pk_fma_f16 v67, v4, v11, v67 op_sel:[0,1,0]
	;; [unrolled: 2-line block ×8, first 2 shown]
	ds_load_2addr_b64 v[4:7], v64 offset0:128 offset1:160
	ds_load_b128 v[8:11], v50 offset:496
	s_waitcnt lgkmcnt(0)
	v_pk_fma_f16 v65, v4, v8, v65 op_sel_hi:[1,0,1]
	v_pk_fma_f16 v75, v4, v8, v75 op_sel:[0,1,0]
	v_pk_fma_f16 v78, v4, v9, v78 op_sel_hi:[1,0,1]
	v_pk_fma_f16 v67, v4, v9, v67 op_sel:[0,1,0]
	;; [unrolled: 2-line block ×8, first 2 shown]
	ds_load_2addr_b64 v[4:7], v64 offset0:192 offset1:224
	s_waitcnt lgkmcnt(0)
	s_barrier
	buffer_gl0_inv
	v_pk_fma_f16 v65, v4, v10, v65 op_sel_hi:[1,0,1]
	v_pk_fma_f16 v75, v4, v10, v75 op_sel:[0,1,0]
	v_pk_fma_f16 v78, v4, v11, v78 op_sel_hi:[1,0,1]
	v_pk_fma_f16 v67, v4, v11, v67 op_sel:[0,1,0]
	v_add_co_u32 v4, vcc_lo, s2, v23
	v_pk_fma_f16 v69, v5, v10, v69 op_sel_hi:[1,0,1]
	v_pk_fma_f16 v73, v5, v10, v73 op_sel:[0,1,0]
	v_pk_fma_f16 v72, v5, v11, v72 op_sel_hi:[1,0,1]
	v_pk_fma_f16 v68, v5, v11, v68 op_sel:[0,1,0]
	v_add_co_ci_u32_e32 v5, vcc_lo, s3, v24, vcc_lo
	v_add_co_u32 v4, vcc_lo, v4, v47
	v_pk_fma_f16 v76, v6, v10, v76 op_sel_hi:[1,0,1]
	s_delay_alu instid0(VALU_DEP_3)
	v_add_co_ci_u32_e32 v5, vcc_lo, 0, v5, vcc_lo
	v_pk_fma_f16 v74, v6, v10, v74 op_sel:[0,1,0]
	v_pk_fma_f16 v70, v6, v11, v70 op_sel_hi:[1,0,1]
	v_pk_fma_f16 v66, v6, v11, v66 op_sel:[0,1,0]
	v_pk_fma_f16 v77, v7, v10, v77 op_sel_hi:[1,0,1]
	v_pk_fma_f16 v79, v7, v10, v8 op_sel:[0,1,0]
	v_pk_fma_f16 v71, v7, v11, v71 op_sel_hi:[1,0,1]
	v_pk_fma_f16 v80, v7, v11, v9 op_sel:[0,1,0]
	global_load_b128 v[4:7], v[4:5], off
	s_waitcnt vmcnt(0)
	ds_store_b128 v51, v[4:7]
	v_add_co_u32 v4, vcc_lo, s2, v25
	v_add_co_ci_u32_e32 v5, vcc_lo, s3, v26, vcc_lo
	s_delay_alu instid0(VALU_DEP_2) | instskip(NEXT) | instid1(VALU_DEP_2)
	v_add_co_u32 v4, vcc_lo, v4, v47
	v_add_co_ci_u32_e32 v5, vcc_lo, 0, v5, vcc_lo
	global_load_b128 v[4:7], v[4:5], off
	s_waitcnt vmcnt(0)
	ds_store_b128 v52, v[4:7]
	v_add_co_u32 v4, vcc_lo, s2, v27
	v_add_co_ci_u32_e32 v5, vcc_lo, s3, v28, vcc_lo
	s_delay_alu instid0(VALU_DEP_2) | instskip(NEXT) | instid1(VALU_DEP_2)
	v_add_co_u32 v4, vcc_lo, v4, v47
	v_add_co_ci_u32_e32 v5, vcc_lo, 0, v5, vcc_lo
	global_load_b128 v[4:7], v[4:5], off
	s_waitcnt vmcnt(0)
	ds_store_b128 v53, v[4:7]
	v_add_co_u32 v4, vcc_lo, s2, v29
	v_add_co_ci_u32_e32 v5, vcc_lo, s3, v30, vcc_lo
	s_or_b32 s2, s9, 0x60
	s_delay_alu instid0(VALU_DEP_2) | instskip(NEXT) | instid1(VALU_DEP_2)
	v_add_co_u32 v4, vcc_lo, v4, v47
	v_add_co_ci_u32_e32 v5, vcc_lo, 0, v5, vcc_lo
	s_mul_hi_i32 s3, s2, s16
	s_mul_i32 s2, s2, s16
	global_load_b128 v[4:7], v[4:5], off
	s_lshl_b64 s[2:3], s[2:3], 2
	s_delay_alu instid0(SALU_CYCLE_1)
	s_add_u32 s2, s20, s2
	s_addc_u32 s3, s21, s3
	s_waitcnt vmcnt(0)
	ds_store_b128 v54, v[4:7]
	s_waitcnt lgkmcnt(0)
	s_barrier
	buffer_gl0_inv
	ds_load_2addr_b64 v[4:7], v57 offset1:32
	ds_load_b128 v[8:11], v50 offset:512
	s_waitcnt lgkmcnt(0)
	v_pk_fma_f16 v65, v4, v8, v65 op_sel_hi:[1,0,1]
	v_pk_fma_f16 v75, v4, v8, v75 op_sel:[0,1,0]
	v_pk_fma_f16 v78, v4, v9, v78 op_sel_hi:[1,0,1]
	v_pk_fma_f16 v67, v4, v9, v67 op_sel:[0,1,0]
	v_pk_fma_f16 v69, v5, v8, v69 op_sel_hi:[1,0,1]
	v_pk_fma_f16 v73, v5, v8, v73 op_sel:[0,1,0]
	v_pk_fma_f16 v72, v5, v9, v72 op_sel_hi:[1,0,1]
	v_pk_fma_f16 v68, v5, v9, v68 op_sel:[0,1,0]
	v_pk_fma_f16 v76, v6, v8, v76 op_sel_hi:[1,0,1]
	v_pk_fma_f16 v74, v6, v8, v74 op_sel:[0,1,0]
	v_pk_fma_f16 v70, v6, v9, v70 op_sel_hi:[1,0,1]
	v_pk_fma_f16 v66, v6, v9, v66 op_sel:[0,1,0]
	v_pk_fma_f16 v77, v7, v8, v77 op_sel_hi:[1,0,1]
	v_pk_fma_f16 v8, v7, v8, v79 op_sel:[0,1,0]
	v_pk_fma_f16 v71, v7, v9, v71 op_sel_hi:[1,0,1]
	v_pk_fma_f16 v9, v7, v9, v80 op_sel:[0,1,0]
	ds_load_2addr_b64 v[4:7], v57 offset0:64 offset1:96
	s_waitcnt lgkmcnt(0)
	v_pk_fma_f16 v65, v4, v10, v65 op_sel_hi:[1,0,1]
	v_pk_fma_f16 v75, v4, v10, v75 op_sel:[0,1,0]
	v_pk_fma_f16 v78, v4, v11, v78 op_sel_hi:[1,0,1]
	v_pk_fma_f16 v67, v4, v11, v67 op_sel:[0,1,0]
	;; [unrolled: 2-line block ×8, first 2 shown]
	ds_load_b128 v[4:7], v50 offset:528
	ds_load_2addr_b64 v[8:11], v57 offset0:128 offset1:160
	s_waitcnt lgkmcnt(0)
	v_pk_fma_f16 v65, v8, v4, v65 op_sel_hi:[1,0,1]
	v_pk_fma_f16 v75, v8, v4, v75 op_sel:[0,1,0]
	v_pk_fma_f16 v78, v8, v5, v78 op_sel_hi:[1,0,1]
	v_pk_fma_f16 v67, v8, v5, v67 op_sel:[0,1,0]
	;; [unrolled: 2-line block ×8, first 2 shown]
	ds_load_2addr_b64 v[8:11], v57 offset0:192 offset1:224
	s_waitcnt lgkmcnt(0)
	v_pk_fma_f16 v65, v8, v6, v65 op_sel_hi:[1,0,1]
	v_pk_fma_f16 v75, v8, v6, v75 op_sel:[0,1,0]
	v_pk_fma_f16 v78, v8, v7, v78 op_sel_hi:[1,0,1]
	v_pk_fma_f16 v67, v8, v7, v67 op_sel:[0,1,0]
	;; [unrolled: 2-line block ×8, first 2 shown]
	ds_load_b128 v[4:7], v50 offset:544
	ds_load_2addr_b64 v[8:11], v58 offset1:32
	s_waitcnt lgkmcnt(0)
	v_pk_fma_f16 v65, v8, v4, v65 op_sel_hi:[1,0,1]
	v_pk_fma_f16 v75, v8, v4, v75 op_sel:[0,1,0]
	v_pk_fma_f16 v78, v8, v5, v78 op_sel_hi:[1,0,1]
	v_pk_fma_f16 v67, v8, v5, v67 op_sel:[0,1,0]
	;; [unrolled: 2-line block ×8, first 2 shown]
	ds_load_2addr_b64 v[8:11], v58 offset0:64 offset1:96
	s_waitcnt lgkmcnt(0)
	v_pk_fma_f16 v65, v8, v6, v65 op_sel_hi:[1,0,1]
	v_pk_fma_f16 v75, v8, v6, v75 op_sel:[0,1,0]
	v_pk_fma_f16 v78, v8, v7, v78 op_sel_hi:[1,0,1]
	v_pk_fma_f16 v67, v8, v7, v67 op_sel:[0,1,0]
	;; [unrolled: 2-line block ×8, first 2 shown]
	ds_load_b128 v[4:7], v50 offset:560
	ds_load_2addr_b64 v[8:11], v58 offset0:128 offset1:160
	s_waitcnt lgkmcnt(0)
	v_pk_fma_f16 v65, v8, v4, v65 op_sel_hi:[1,0,1]
	v_pk_fma_f16 v75, v8, v4, v75 op_sel:[0,1,0]
	v_pk_fma_f16 v78, v8, v5, v78 op_sel_hi:[1,0,1]
	v_pk_fma_f16 v67, v8, v5, v67 op_sel:[0,1,0]
	;; [unrolled: 2-line block ×8, first 2 shown]
	ds_load_2addr_b64 v[8:11], v58 offset0:192 offset1:224
	s_waitcnt lgkmcnt(0)
	v_pk_fma_f16 v65, v8, v6, v65 op_sel_hi:[1,0,1]
	v_pk_fma_f16 v75, v8, v6, v75 op_sel:[0,1,0]
	v_pk_fma_f16 v78, v8, v7, v78 op_sel_hi:[1,0,1]
	v_pk_fma_f16 v67, v8, v7, v67 op_sel:[0,1,0]
	;; [unrolled: 2-line block ×8, first 2 shown]
	ds_load_2addr_b64 v[4:7], v59 offset1:32
	ds_load_b128 v[8:11], v50 offset:576
	s_waitcnt lgkmcnt(0)
	v_pk_fma_f16 v65, v4, v8, v65 op_sel_hi:[1,0,1]
	v_pk_fma_f16 v75, v4, v8, v75 op_sel:[0,1,0]
	v_pk_fma_f16 v78, v4, v9, v78 op_sel_hi:[1,0,1]
	v_pk_fma_f16 v67, v4, v9, v67 op_sel:[0,1,0]
	;; [unrolled: 2-line block ×8, first 2 shown]
	ds_load_2addr_b64 v[4:7], v59 offset0:64 offset1:96
	s_waitcnt lgkmcnt(0)
	v_pk_fma_f16 v65, v4, v10, v65 op_sel_hi:[1,0,1]
	v_pk_fma_f16 v75, v4, v10, v75 op_sel:[0,1,0]
	v_pk_fma_f16 v78, v4, v11, v78 op_sel_hi:[1,0,1]
	v_pk_fma_f16 v67, v4, v11, v67 op_sel:[0,1,0]
	v_pk_fma_f16 v69, v5, v10, v69 op_sel_hi:[1,0,1]
	v_pk_fma_f16 v73, v5, v10, v73 op_sel:[0,1,0]
	v_pk_fma_f16 v72, v5, v11, v72 op_sel_hi:[1,0,1]
	v_pk_fma_f16 v68, v5, v11, v68 op_sel:[0,1,0]
	v_pk_fma_f16 v76, v6, v10, v76 op_sel_hi:[1,0,1]
	v_pk_fma_f16 v74, v6, v10, v74 op_sel:[0,1,0]
	v_pk_fma_f16 v70, v6, v11, v70 op_sel_hi:[1,0,1]
	v_pk_fma_f16 v66, v6, v11, v66 op_sel:[0,1,0]
	v_pk_fma_f16 v77, v7, v10, v77 op_sel_hi:[1,0,1]
	v_pk_fma_f16 v79, v7, v10, v8 op_sel:[0,1,0]
	v_pk_fma_f16 v71, v7, v11, v71 op_sel_hi:[1,0,1]
	v_pk_fma_f16 v80, v7, v11, v9 op_sel:[0,1,0]
	ds_load_2addr_b64 v[4:7], v59 offset0:128 offset1:160
	ds_load_b128 v[8:11], v50 offset:592
	s_waitcnt lgkmcnt(0)
	v_pk_fma_f16 v65, v4, v8, v65 op_sel_hi:[1,0,1]
	v_pk_fma_f16 v75, v4, v8, v75 op_sel:[0,1,0]
	v_pk_fma_f16 v78, v4, v9, v78 op_sel_hi:[1,0,1]
	v_pk_fma_f16 v67, v4, v9, v67 op_sel:[0,1,0]
	;; [unrolled: 2-line block ×8, first 2 shown]
	ds_load_2addr_b64 v[4:7], v59 offset0:192 offset1:224
	s_waitcnt lgkmcnt(0)
	v_pk_fma_f16 v65, v4, v10, v65 op_sel_hi:[1,0,1]
	v_pk_fma_f16 v75, v4, v10, v75 op_sel:[0,1,0]
	v_pk_fma_f16 v78, v4, v11, v78 op_sel_hi:[1,0,1]
	v_pk_fma_f16 v67, v4, v11, v67 op_sel:[0,1,0]
	;; [unrolled: 2-line block ×8, first 2 shown]
	ds_load_2addr_b64 v[4:7], v60 offset1:32
	ds_load_b128 v[8:11], v50 offset:608
	s_waitcnt lgkmcnt(0)
	v_pk_fma_f16 v65, v4, v8, v65 op_sel_hi:[1,0,1]
	v_pk_fma_f16 v75, v4, v8, v75 op_sel:[0,1,0]
	v_pk_fma_f16 v78, v4, v9, v78 op_sel_hi:[1,0,1]
	v_pk_fma_f16 v67, v4, v9, v67 op_sel:[0,1,0]
	;; [unrolled: 2-line block ×8, first 2 shown]
	ds_load_2addr_b64 v[4:7], v60 offset0:64 offset1:96
	s_waitcnt lgkmcnt(0)
	v_pk_fma_f16 v65, v4, v10, v65 op_sel_hi:[1,0,1]
	v_pk_fma_f16 v75, v4, v10, v75 op_sel:[0,1,0]
	v_pk_fma_f16 v78, v4, v11, v78 op_sel_hi:[1,0,1]
	v_pk_fma_f16 v67, v4, v11, v67 op_sel:[0,1,0]
	;; [unrolled: 2-line block ×8, first 2 shown]
	ds_load_2addr_b64 v[4:7], v60 offset0:128 offset1:160
	ds_load_b128 v[8:11], v50 offset:624
	s_waitcnt lgkmcnt(0)
	v_pk_fma_f16 v65, v4, v8, v65 op_sel_hi:[1,0,1]
	v_pk_fma_f16 v75, v4, v8, v75 op_sel:[0,1,0]
	v_pk_fma_f16 v78, v4, v9, v78 op_sel_hi:[1,0,1]
	v_pk_fma_f16 v67, v4, v9, v67 op_sel:[0,1,0]
	;; [unrolled: 2-line block ×8, first 2 shown]
	ds_load_2addr_b64 v[4:7], v60 offset0:192 offset1:224
	s_waitcnt lgkmcnt(0)
	v_pk_fma_f16 v65, v4, v10, v65 op_sel_hi:[1,0,1]
	v_pk_fma_f16 v75, v4, v10, v75 op_sel:[0,1,0]
	v_pk_fma_f16 v78, v4, v11, v78 op_sel_hi:[1,0,1]
	v_pk_fma_f16 v67, v4, v11, v67 op_sel:[0,1,0]
	;; [unrolled: 2-line block ×8, first 2 shown]
	ds_load_2addr_b64 v[4:7], v61 offset1:32
	ds_load_b128 v[8:11], v50 offset:640
	s_waitcnt lgkmcnt(0)
	v_pk_fma_f16 v65, v4, v8, v65 op_sel_hi:[1,0,1]
	v_pk_fma_f16 v75, v4, v8, v75 op_sel:[0,1,0]
	v_pk_fma_f16 v78, v4, v9, v78 op_sel_hi:[1,0,1]
	v_pk_fma_f16 v67, v4, v9, v67 op_sel:[0,1,0]
	;; [unrolled: 2-line block ×8, first 2 shown]
	ds_load_2addr_b64 v[4:7], v61 offset0:64 offset1:96
	s_waitcnt lgkmcnt(0)
	v_pk_fma_f16 v65, v4, v10, v65 op_sel_hi:[1,0,1]
	v_pk_fma_f16 v75, v4, v10, v75 op_sel:[0,1,0]
	v_pk_fma_f16 v78, v4, v11, v78 op_sel_hi:[1,0,1]
	v_pk_fma_f16 v67, v4, v11, v67 op_sel:[0,1,0]
	;; [unrolled: 2-line block ×8, first 2 shown]
	ds_load_2addr_b64 v[4:7], v61 offset0:128 offset1:160
	ds_load_b128 v[8:11], v50 offset:656
	s_waitcnt lgkmcnt(0)
	v_pk_fma_f16 v65, v4, v8, v65 op_sel_hi:[1,0,1]
	v_pk_fma_f16 v75, v4, v8, v75 op_sel:[0,1,0]
	v_pk_fma_f16 v78, v4, v9, v78 op_sel_hi:[1,0,1]
	v_pk_fma_f16 v67, v4, v9, v67 op_sel:[0,1,0]
	;; [unrolled: 2-line block ×8, first 2 shown]
	ds_load_2addr_b64 v[4:7], v61 offset0:192 offset1:224
	s_waitcnt lgkmcnt(0)
	v_pk_fma_f16 v65, v4, v10, v65 op_sel_hi:[1,0,1]
	v_pk_fma_f16 v75, v4, v10, v75 op_sel:[0,1,0]
	v_pk_fma_f16 v78, v4, v11, v78 op_sel_hi:[1,0,1]
	v_pk_fma_f16 v67, v4, v11, v67 op_sel:[0,1,0]
	;; [unrolled: 2-line block ×8, first 2 shown]
	ds_load_2addr_b64 v[4:7], v62 offset1:32
	ds_load_b128 v[8:11], v50 offset:672
	s_waitcnt lgkmcnt(0)
	v_pk_fma_f16 v65, v4, v8, v65 op_sel_hi:[1,0,1]
	v_pk_fma_f16 v75, v4, v8, v75 op_sel:[0,1,0]
	v_pk_fma_f16 v78, v4, v9, v78 op_sel_hi:[1,0,1]
	v_pk_fma_f16 v67, v4, v9, v67 op_sel:[0,1,0]
	;; [unrolled: 2-line block ×8, first 2 shown]
	ds_load_2addr_b64 v[4:7], v62 offset0:64 offset1:96
	s_waitcnt lgkmcnt(0)
	v_pk_fma_f16 v65, v4, v10, v65 op_sel_hi:[1,0,1]
	v_pk_fma_f16 v75, v4, v10, v75 op_sel:[0,1,0]
	v_pk_fma_f16 v78, v4, v11, v78 op_sel_hi:[1,0,1]
	v_pk_fma_f16 v67, v4, v11, v67 op_sel:[0,1,0]
	;; [unrolled: 2-line block ×8, first 2 shown]
	ds_load_2addr_b64 v[4:7], v62 offset0:128 offset1:160
	ds_load_b128 v[8:11], v50 offset:688
	s_waitcnt lgkmcnt(0)
	v_pk_fma_f16 v65, v4, v8, v65 op_sel_hi:[1,0,1]
	v_pk_fma_f16 v75, v4, v8, v75 op_sel:[0,1,0]
	v_pk_fma_f16 v78, v4, v9, v78 op_sel_hi:[1,0,1]
	v_pk_fma_f16 v67, v4, v9, v67 op_sel:[0,1,0]
	;; [unrolled: 2-line block ×8, first 2 shown]
	ds_load_2addr_b64 v[4:7], v62 offset0:192 offset1:224
	s_waitcnt lgkmcnt(0)
	v_pk_fma_f16 v65, v4, v10, v65 op_sel_hi:[1,0,1]
	v_pk_fma_f16 v75, v4, v10, v75 op_sel:[0,1,0]
	v_pk_fma_f16 v78, v4, v11, v78 op_sel_hi:[1,0,1]
	v_pk_fma_f16 v67, v4, v11, v67 op_sel:[0,1,0]
	;; [unrolled: 2-line block ×8, first 2 shown]
	ds_load_2addr_b64 v[4:7], v63 offset1:32
	ds_load_b128 v[8:11], v50 offset:704
	s_waitcnt lgkmcnt(0)
	v_pk_fma_f16 v65, v4, v8, v65 op_sel_hi:[1,0,1]
	v_pk_fma_f16 v75, v4, v8, v75 op_sel:[0,1,0]
	v_pk_fma_f16 v78, v4, v9, v78 op_sel_hi:[1,0,1]
	v_pk_fma_f16 v67, v4, v9, v67 op_sel:[0,1,0]
	v_pk_fma_f16 v69, v5, v8, v69 op_sel_hi:[1,0,1]
	v_pk_fma_f16 v73, v5, v8, v73 op_sel:[0,1,0]
	v_pk_fma_f16 v72, v5, v9, v72 op_sel_hi:[1,0,1]
	v_pk_fma_f16 v68, v5, v9, v68 op_sel:[0,1,0]
	v_pk_fma_f16 v76, v6, v8, v76 op_sel_hi:[1,0,1]
	v_pk_fma_f16 v74, v6, v8, v74 op_sel:[0,1,0]
	v_pk_fma_f16 v70, v6, v9, v70 op_sel_hi:[1,0,1]
	v_pk_fma_f16 v66, v6, v9, v66 op_sel:[0,1,0]
	v_pk_fma_f16 v77, v7, v8, v77 op_sel_hi:[1,0,1]
	v_pk_fma_f16 v8, v7, v8, v79 op_sel:[0,1,0]
	v_pk_fma_f16 v71, v7, v9, v71 op_sel_hi:[1,0,1]
	v_pk_fma_f16 v9, v7, v9, v80 op_sel:[0,1,0]
	ds_load_2addr_b64 v[4:7], v63 offset0:64 offset1:96
	s_waitcnt lgkmcnt(0)
	v_pk_fma_f16 v65, v4, v10, v65 op_sel_hi:[1,0,1]
	v_pk_fma_f16 v75, v4, v10, v75 op_sel:[0,1,0]
	v_pk_fma_f16 v78, v4, v11, v78 op_sel_hi:[1,0,1]
	v_pk_fma_f16 v67, v4, v11, v67 op_sel:[0,1,0]
	;; [unrolled: 2-line block ×8, first 2 shown]
	ds_load_2addr_b64 v[4:7], v63 offset0:128 offset1:160
	ds_load_b128 v[8:11], v50 offset:720
	s_waitcnt lgkmcnt(0)
	v_pk_fma_f16 v65, v4, v8, v65 op_sel_hi:[1,0,1]
	v_pk_fma_f16 v75, v4, v8, v75 op_sel:[0,1,0]
	v_pk_fma_f16 v78, v4, v9, v78 op_sel_hi:[1,0,1]
	v_pk_fma_f16 v67, v4, v9, v67 op_sel:[0,1,0]
	;; [unrolled: 2-line block ×8, first 2 shown]
	ds_load_2addr_b64 v[4:7], v63 offset0:192 offset1:224
	s_waitcnt lgkmcnt(0)
	v_pk_fma_f16 v65, v4, v10, v65 op_sel_hi:[1,0,1]
	v_pk_fma_f16 v75, v4, v10, v75 op_sel:[0,1,0]
	v_pk_fma_f16 v78, v4, v11, v78 op_sel_hi:[1,0,1]
	v_pk_fma_f16 v67, v4, v11, v67 op_sel:[0,1,0]
	;; [unrolled: 2-line block ×8, first 2 shown]
	ds_load_2addr_b64 v[4:7], v64 offset1:32
	ds_load_b128 v[8:11], v50 offset:736
	s_waitcnt lgkmcnt(0)
	v_pk_fma_f16 v65, v4, v8, v65 op_sel_hi:[1,0,1]
	v_pk_fma_f16 v75, v4, v8, v75 op_sel:[0,1,0]
	v_pk_fma_f16 v78, v4, v9, v78 op_sel_hi:[1,0,1]
	v_pk_fma_f16 v67, v4, v9, v67 op_sel:[0,1,0]
	v_pk_fma_f16 v69, v5, v8, v69 op_sel_hi:[1,0,1]
	v_pk_fma_f16 v73, v5, v8, v73 op_sel:[0,1,0]
	v_pk_fma_f16 v72, v5, v9, v72 op_sel_hi:[1,0,1]
	v_pk_fma_f16 v68, v5, v9, v68 op_sel:[0,1,0]
	v_pk_fma_f16 v76, v6, v8, v76 op_sel_hi:[1,0,1]
	v_pk_fma_f16 v74, v6, v8, v74 op_sel:[0,1,0]
	v_pk_fma_f16 v70, v6, v9, v70 op_sel_hi:[1,0,1]
	v_pk_fma_f16 v66, v6, v9, v66 op_sel:[0,1,0]
	v_pk_fma_f16 v77, v7, v8, v77 op_sel_hi:[1,0,1]
	v_pk_fma_f16 v8, v7, v8, v79 op_sel:[0,1,0]
	v_pk_fma_f16 v71, v7, v9, v71 op_sel_hi:[1,0,1]
	v_pk_fma_f16 v9, v7, v9, v80 op_sel:[0,1,0]
	ds_load_2addr_b64 v[4:7], v64 offset0:64 offset1:96
	s_waitcnt lgkmcnt(0)
	v_pk_fma_f16 v65, v4, v10, v65 op_sel_hi:[1,0,1]
	v_pk_fma_f16 v75, v4, v10, v75 op_sel:[0,1,0]
	v_pk_fma_f16 v78, v4, v11, v78 op_sel_hi:[1,0,1]
	v_pk_fma_f16 v67, v4, v11, v67 op_sel:[0,1,0]
	;; [unrolled: 2-line block ×8, first 2 shown]
	ds_load_2addr_b64 v[4:7], v64 offset0:128 offset1:160
	ds_load_b128 v[8:11], v50 offset:752
	s_waitcnt lgkmcnt(0)
	v_pk_fma_f16 v65, v4, v8, v65 op_sel_hi:[1,0,1]
	v_pk_fma_f16 v75, v4, v8, v75 op_sel:[0,1,0]
	v_pk_fma_f16 v78, v4, v9, v78 op_sel_hi:[1,0,1]
	v_pk_fma_f16 v101, v4, v9, v67 op_sel:[0,1,0]
	;; [unrolled: 2-line block ×8, first 2 shown]
	ds_load_2addr_b64 v[4:7], v64 offset0:192 offset1:224
	s_waitcnt lgkmcnt(0)
	s_barrier
	buffer_gl0_inv
	v_pk_fma_f16 v65, v4, v10, v65 op_sel_hi:[1,0,1]
	v_pk_fma_f16 v66, v4, v10, v75 op_sel:[0,1,0]
	v_pk_fma_f16 v67, v4, v11, v78 op_sel_hi:[1,0,1]
	v_pk_fma_f16 v68, v4, v11, v101 op_sel:[0,1,0]
	v_add_co_u32 v4, vcc_lo, s2, v23
	v_pk_fma_f16 v69, v5, v10, v69 op_sel_hi:[1,0,1]
	v_pk_fma_f16 v70, v5, v10, v73 op_sel:[0,1,0]
	v_pk_fma_f16 v71, v5, v11, v72 op_sel_hi:[1,0,1]
	v_pk_fma_f16 v72, v5, v11, v102 op_sel:[0,1,0]
	v_add_co_ci_u32_e32 v5, vcc_lo, s3, v24, vcc_lo
	v_add_co_u32 v4, vcc_lo, v4, v47
	v_pk_fma_f16 v73, v6, v10, v76 op_sel_hi:[1,0,1]
	s_delay_alu instid0(VALU_DEP_3)
	v_add_co_ci_u32_e32 v5, vcc_lo, 0, v5, vcc_lo
	v_pk_fma_f16 v74, v6, v10, v74 op_sel:[0,1,0]
	v_pk_fma_f16 v75, v6, v11, v103 op_sel_hi:[1,0,1]
	v_pk_fma_f16 v76, v6, v11, v104 op_sel:[0,1,0]
	v_pk_fma_f16 v77, v7, v10, v77 op_sel_hi:[1,0,1]
	;; [unrolled: 2-line block ×3, first 2 shown]
	v_pk_fma_f16 v80, v7, v11, v9 op_sel:[0,1,0]
	global_load_b128 v[4:7], v[4:5], off
	s_waitcnt vmcnt(0)
	ds_store_b128 v51, v[4:7]
	v_add_co_u32 v4, vcc_lo, s2, v25
	v_add_co_ci_u32_e32 v5, vcc_lo, s3, v26, vcc_lo
	s_delay_alu instid0(VALU_DEP_2) | instskip(NEXT) | instid1(VALU_DEP_2)
	v_add_co_u32 v4, vcc_lo, v4, v47
	v_add_co_ci_u32_e32 v5, vcc_lo, 0, v5, vcc_lo
	global_load_b128 v[4:7], v[4:5], off
	s_waitcnt vmcnt(0)
	ds_store_b128 v52, v[4:7]
	v_add_co_u32 v4, vcc_lo, s2, v27
	v_add_co_ci_u32_e32 v5, vcc_lo, s3, v28, vcc_lo
	s_delay_alu instid0(VALU_DEP_2) | instskip(NEXT) | instid1(VALU_DEP_2)
	v_add_co_u32 v4, vcc_lo, v4, v47
	v_add_co_ci_u32_e32 v5, vcc_lo, 0, v5, vcc_lo
	;; [unrolled: 8-line block ×3, first 2 shown]
	global_load_b128 v[4:7], v[4:5], off
	s_waitcnt vmcnt(0)
	ds_store_b128 v54, v[4:7]
	s_waitcnt lgkmcnt(0)
	s_barrier
	buffer_gl0_inv
	ds_load_2addr_b64 v[8:11], v57 offset1:32
	ds_load_b128 v[4:7], v50 offset:768
	s_waitcnt lgkmcnt(0)
	v_pk_fma_f16 v65, v8, v4, v65 op_sel_hi:[1,0,1]
	v_pk_fma_f16 v66, v8, v4, v66 op_sel:[0,1,0]
	v_pk_fma_f16 v67, v8, v5, v67 op_sel_hi:[1,0,1]
	v_pk_fma_f16 v68, v8, v5, v68 op_sel:[0,1,0]
	;; [unrolled: 2-line block ×8, first 2 shown]
	ds_load_2addr_b64 v[8:11], v57 offset0:64 offset1:96
	s_waitcnt lgkmcnt(0)
	v_pk_fma_f16 v65, v8, v6, v65 op_sel_hi:[1,0,1]
	v_pk_fma_f16 v66, v8, v6, v66 op_sel:[0,1,0]
	v_pk_fma_f16 v67, v8, v7, v67 op_sel_hi:[1,0,1]
	v_pk_fma_f16 v68, v8, v7, v68 op_sel:[0,1,0]
	;; [unrolled: 2-line block ×8, first 2 shown]
	ds_load_b128 v[4:7], v50 offset:784
	ds_load_2addr_b64 v[8:11], v57 offset0:128 offset1:160
	s_waitcnt lgkmcnt(0)
	v_pk_fma_f16 v65, v8, v4, v65 op_sel_hi:[1,0,1]
	v_pk_fma_f16 v66, v8, v4, v66 op_sel:[0,1,0]
	v_pk_fma_f16 v67, v8, v5, v67 op_sel_hi:[1,0,1]
	v_pk_fma_f16 v68, v8, v5, v68 op_sel:[0,1,0]
	;; [unrolled: 2-line block ×8, first 2 shown]
	ds_load_2addr_b64 v[8:11], v57 offset0:192 offset1:224
	s_waitcnt lgkmcnt(0)
	v_pk_fma_f16 v65, v8, v6, v65 op_sel_hi:[1,0,1]
	v_pk_fma_f16 v66, v8, v6, v66 op_sel:[0,1,0]
	v_pk_fma_f16 v67, v8, v7, v67 op_sel_hi:[1,0,1]
	v_pk_fma_f16 v68, v8, v7, v68 op_sel:[0,1,0]
	;; [unrolled: 2-line block ×8, first 2 shown]
	ds_load_b128 v[4:7], v50 offset:800
	ds_load_2addr_b64 v[8:11], v58 offset1:32
	s_waitcnt lgkmcnt(0)
	v_pk_fma_f16 v65, v8, v4, v65 op_sel_hi:[1,0,1]
	v_pk_fma_f16 v66, v8, v4, v66 op_sel:[0,1,0]
	v_pk_fma_f16 v67, v8, v5, v67 op_sel_hi:[1,0,1]
	v_pk_fma_f16 v68, v8, v5, v68 op_sel:[0,1,0]
	;; [unrolled: 2-line block ×8, first 2 shown]
	ds_load_2addr_b64 v[8:11], v58 offset0:64 offset1:96
	s_waitcnt lgkmcnt(0)
	v_pk_fma_f16 v65, v8, v6, v65 op_sel_hi:[1,0,1]
	v_pk_fma_f16 v66, v8, v6, v66 op_sel:[0,1,0]
	v_pk_fma_f16 v67, v8, v7, v67 op_sel_hi:[1,0,1]
	v_pk_fma_f16 v68, v8, v7, v68 op_sel:[0,1,0]
	;; [unrolled: 2-line block ×8, first 2 shown]
	ds_load_b128 v[4:7], v50 offset:816
	ds_load_2addr_b64 v[8:11], v58 offset0:128 offset1:160
	s_waitcnt lgkmcnt(0)
	v_pk_fma_f16 v65, v8, v4, v65 op_sel_hi:[1,0,1]
	v_pk_fma_f16 v66, v8, v4, v66 op_sel:[0,1,0]
	v_pk_fma_f16 v67, v8, v5, v67 op_sel_hi:[1,0,1]
	v_pk_fma_f16 v68, v8, v5, v68 op_sel:[0,1,0]
	;; [unrolled: 2-line block ×8, first 2 shown]
	ds_load_2addr_b64 v[8:11], v58 offset0:192 offset1:224
	s_waitcnt lgkmcnt(0)
	v_pk_fma_f16 v65, v8, v6, v65 op_sel_hi:[1,0,1]
	v_pk_fma_f16 v66, v8, v6, v66 op_sel:[0,1,0]
	v_pk_fma_f16 v67, v8, v7, v67 op_sel_hi:[1,0,1]
	v_pk_fma_f16 v68, v8, v7, v68 op_sel:[0,1,0]
	v_pk_fma_f16 v69, v9, v6, v69 op_sel_hi:[1,0,1]
	v_pk_fma_f16 v70, v9, v6, v70 op_sel:[0,1,0]
	v_pk_fma_f16 v71, v9, v7, v71 op_sel_hi:[1,0,1]
	v_pk_fma_f16 v72, v9, v7, v72 op_sel:[0,1,0]
	v_pk_fma_f16 v73, v10, v6, v73 op_sel_hi:[1,0,1]
	v_pk_fma_f16 v74, v10, v6, v74 op_sel:[0,1,0]
	v_pk_fma_f16 v75, v10, v7, v75 op_sel_hi:[1,0,1]
	v_pk_fma_f16 v76, v10, v7, v76 op_sel:[0,1,0]
	v_pk_fma_f16 v77, v11, v6, v77 op_sel_hi:[1,0,1]
	v_pk_fma_f16 v79, v11, v6, v4 op_sel:[0,1,0]
	v_pk_fma_f16 v78, v11, v7, v78 op_sel_hi:[1,0,1]
	v_pk_fma_f16 v80, v11, v7, v5 op_sel:[0,1,0]
	ds_load_2addr_b64 v[4:7], v59 offset1:32
	ds_load_b128 v[8:11], v50 offset:832
	s_waitcnt lgkmcnt(0)
	v_pk_fma_f16 v65, v4, v8, v65 op_sel_hi:[1,0,1]
	v_pk_fma_f16 v66, v4, v8, v66 op_sel:[0,1,0]
	v_pk_fma_f16 v67, v4, v9, v67 op_sel_hi:[1,0,1]
	v_pk_fma_f16 v68, v4, v9, v68 op_sel:[0,1,0]
	;; [unrolled: 2-line block ×8, first 2 shown]
	ds_load_2addr_b64 v[4:7], v59 offset0:64 offset1:96
	s_waitcnt lgkmcnt(0)
	v_pk_fma_f16 v65, v4, v10, v65 op_sel_hi:[1,0,1]
	v_pk_fma_f16 v66, v4, v10, v66 op_sel:[0,1,0]
	v_pk_fma_f16 v67, v4, v11, v67 op_sel_hi:[1,0,1]
	v_pk_fma_f16 v68, v4, v11, v68 op_sel:[0,1,0]
	;; [unrolled: 2-line block ×8, first 2 shown]
	ds_load_2addr_b64 v[4:7], v59 offset0:128 offset1:160
	ds_load_b128 v[8:11], v50 offset:848
	s_waitcnt lgkmcnt(0)
	v_pk_fma_f16 v65, v4, v8, v65 op_sel_hi:[1,0,1]
	v_pk_fma_f16 v66, v4, v8, v66 op_sel:[0,1,0]
	v_pk_fma_f16 v67, v4, v9, v67 op_sel_hi:[1,0,1]
	v_pk_fma_f16 v68, v4, v9, v68 op_sel:[0,1,0]
	;; [unrolled: 2-line block ×8, first 2 shown]
	ds_load_2addr_b64 v[4:7], v59 offset0:192 offset1:224
	s_waitcnt lgkmcnt(0)
	v_pk_fma_f16 v65, v4, v10, v65 op_sel_hi:[1,0,1]
	v_pk_fma_f16 v66, v4, v10, v66 op_sel:[0,1,0]
	v_pk_fma_f16 v67, v4, v11, v67 op_sel_hi:[1,0,1]
	v_pk_fma_f16 v68, v4, v11, v68 op_sel:[0,1,0]
	;; [unrolled: 2-line block ×8, first 2 shown]
	ds_load_2addr_b64 v[4:7], v60 offset1:32
	ds_load_b128 v[8:11], v50 offset:864
	s_waitcnt lgkmcnt(0)
	v_pk_fma_f16 v65, v4, v8, v65 op_sel_hi:[1,0,1]
	v_pk_fma_f16 v66, v4, v8, v66 op_sel:[0,1,0]
	v_pk_fma_f16 v67, v4, v9, v67 op_sel_hi:[1,0,1]
	v_pk_fma_f16 v68, v4, v9, v68 op_sel:[0,1,0]
	;; [unrolled: 2-line block ×8, first 2 shown]
	ds_load_2addr_b64 v[4:7], v60 offset0:64 offset1:96
	s_waitcnt lgkmcnt(0)
	v_pk_fma_f16 v65, v4, v10, v65 op_sel_hi:[1,0,1]
	v_pk_fma_f16 v66, v4, v10, v66 op_sel:[0,1,0]
	v_pk_fma_f16 v67, v4, v11, v67 op_sel_hi:[1,0,1]
	v_pk_fma_f16 v68, v4, v11, v68 op_sel:[0,1,0]
	;; [unrolled: 2-line block ×8, first 2 shown]
	ds_load_2addr_b64 v[4:7], v60 offset0:128 offset1:160
	ds_load_b128 v[8:11], v50 offset:880
	s_waitcnt lgkmcnt(0)
	v_pk_fma_f16 v65, v4, v8, v65 op_sel_hi:[1,0,1]
	v_pk_fma_f16 v66, v4, v8, v66 op_sel:[0,1,0]
	v_pk_fma_f16 v67, v4, v9, v67 op_sel_hi:[1,0,1]
	v_pk_fma_f16 v68, v4, v9, v68 op_sel:[0,1,0]
	;; [unrolled: 2-line block ×8, first 2 shown]
	ds_load_2addr_b64 v[4:7], v60 offset0:192 offset1:224
	s_waitcnt lgkmcnt(0)
	v_pk_fma_f16 v65, v4, v10, v65 op_sel_hi:[1,0,1]
	v_pk_fma_f16 v66, v4, v10, v66 op_sel:[0,1,0]
	v_pk_fma_f16 v67, v4, v11, v67 op_sel_hi:[1,0,1]
	v_pk_fma_f16 v68, v4, v11, v68 op_sel:[0,1,0]
	v_pk_fma_f16 v69, v5, v10, v69 op_sel_hi:[1,0,1]
	v_pk_fma_f16 v70, v5, v10, v70 op_sel:[0,1,0]
	v_pk_fma_f16 v71, v5, v11, v71 op_sel_hi:[1,0,1]
	v_pk_fma_f16 v72, v5, v11, v72 op_sel:[0,1,0]
	v_pk_fma_f16 v73, v6, v10, v73 op_sel_hi:[1,0,1]
	v_pk_fma_f16 v74, v6, v10, v74 op_sel:[0,1,0]
	v_pk_fma_f16 v75, v6, v11, v75 op_sel_hi:[1,0,1]
	v_pk_fma_f16 v76, v6, v11, v76 op_sel:[0,1,0]
	v_pk_fma_f16 v77, v7, v10, v77 op_sel_hi:[1,0,1]
	v_pk_fma_f16 v79, v7, v10, v8 op_sel:[0,1,0]
	v_pk_fma_f16 v78, v7, v11, v78 op_sel_hi:[1,0,1]
	v_pk_fma_f16 v80, v7, v11, v9 op_sel:[0,1,0]
	ds_load_2addr_b64 v[4:7], v61 offset1:32
	ds_load_b128 v[8:11], v50 offset:896
	s_waitcnt lgkmcnt(0)
	v_pk_fma_f16 v65, v4, v8, v65 op_sel_hi:[1,0,1]
	v_pk_fma_f16 v66, v4, v8, v66 op_sel:[0,1,0]
	v_pk_fma_f16 v67, v4, v9, v67 op_sel_hi:[1,0,1]
	v_pk_fma_f16 v68, v4, v9, v68 op_sel:[0,1,0]
	;; [unrolled: 2-line block ×8, first 2 shown]
	ds_load_2addr_b64 v[4:7], v61 offset0:64 offset1:96
	s_waitcnt lgkmcnt(0)
	v_pk_fma_f16 v65, v4, v10, v65 op_sel_hi:[1,0,1]
	v_pk_fma_f16 v66, v4, v10, v66 op_sel:[0,1,0]
	v_pk_fma_f16 v67, v4, v11, v67 op_sel_hi:[1,0,1]
	v_pk_fma_f16 v68, v4, v11, v68 op_sel:[0,1,0]
	;; [unrolled: 2-line block ×8, first 2 shown]
	ds_load_2addr_b64 v[4:7], v61 offset0:128 offset1:160
	ds_load_b128 v[8:11], v50 offset:912
	s_waitcnt lgkmcnt(0)
	v_pk_fma_f16 v65, v4, v8, v65 op_sel_hi:[1,0,1]
	v_pk_fma_f16 v66, v4, v8, v66 op_sel:[0,1,0]
	v_pk_fma_f16 v67, v4, v9, v67 op_sel_hi:[1,0,1]
	v_pk_fma_f16 v68, v4, v9, v68 op_sel:[0,1,0]
	;; [unrolled: 2-line block ×8, first 2 shown]
	ds_load_2addr_b64 v[4:7], v61 offset0:192 offset1:224
	s_waitcnt lgkmcnt(0)
	v_pk_fma_f16 v65, v4, v10, v65 op_sel_hi:[1,0,1]
	v_pk_fma_f16 v66, v4, v10, v66 op_sel:[0,1,0]
	v_pk_fma_f16 v67, v4, v11, v67 op_sel_hi:[1,0,1]
	v_pk_fma_f16 v68, v4, v11, v68 op_sel:[0,1,0]
	;; [unrolled: 2-line block ×8, first 2 shown]
	ds_load_2addr_b64 v[4:7], v62 offset1:32
	ds_load_b128 v[8:11], v50 offset:928
	s_waitcnt lgkmcnt(0)
	v_pk_fma_f16 v65, v4, v8, v65 op_sel_hi:[1,0,1]
	v_pk_fma_f16 v66, v4, v8, v66 op_sel:[0,1,0]
	v_pk_fma_f16 v67, v4, v9, v67 op_sel_hi:[1,0,1]
	v_pk_fma_f16 v68, v4, v9, v68 op_sel:[0,1,0]
	;; [unrolled: 2-line block ×8, first 2 shown]
	ds_load_2addr_b64 v[4:7], v62 offset0:64 offset1:96
	s_waitcnt lgkmcnt(0)
	v_pk_fma_f16 v65, v4, v10, v65 op_sel_hi:[1,0,1]
	v_pk_fma_f16 v66, v4, v10, v66 op_sel:[0,1,0]
	v_pk_fma_f16 v67, v4, v11, v67 op_sel_hi:[1,0,1]
	v_pk_fma_f16 v68, v4, v11, v68 op_sel:[0,1,0]
	;; [unrolled: 2-line block ×8, first 2 shown]
	ds_load_2addr_b64 v[4:7], v62 offset0:128 offset1:160
	ds_load_b128 v[8:11], v50 offset:944
	s_waitcnt lgkmcnt(0)
	v_pk_fma_f16 v65, v4, v8, v65 op_sel_hi:[1,0,1]
	v_pk_fma_f16 v66, v4, v8, v66 op_sel:[0,1,0]
	v_pk_fma_f16 v67, v4, v9, v67 op_sel_hi:[1,0,1]
	v_pk_fma_f16 v68, v4, v9, v68 op_sel:[0,1,0]
	;; [unrolled: 2-line block ×8, first 2 shown]
	ds_load_2addr_b64 v[4:7], v62 offset0:192 offset1:224
	s_waitcnt lgkmcnt(0)
	v_pk_fma_f16 v65, v4, v10, v65 op_sel_hi:[1,0,1]
	v_pk_fma_f16 v66, v4, v10, v66 op_sel:[0,1,0]
	v_pk_fma_f16 v67, v4, v11, v67 op_sel_hi:[1,0,1]
	v_pk_fma_f16 v68, v4, v11, v68 op_sel:[0,1,0]
	;; [unrolled: 2-line block ×8, first 2 shown]
	ds_load_2addr_b64 v[4:7], v63 offset1:32
	ds_load_b128 v[8:11], v50 offset:960
	s_waitcnt lgkmcnt(0)
	v_pk_fma_f16 v65, v4, v8, v65 op_sel_hi:[1,0,1]
	v_pk_fma_f16 v66, v4, v8, v66 op_sel:[0,1,0]
	v_pk_fma_f16 v67, v4, v9, v67 op_sel_hi:[1,0,1]
	v_pk_fma_f16 v68, v4, v9, v68 op_sel:[0,1,0]
	v_pk_fma_f16 v69, v5, v8, v69 op_sel_hi:[1,0,1]
	v_pk_fma_f16 v70, v5, v8, v70 op_sel:[0,1,0]
	v_pk_fma_f16 v71, v5, v9, v71 op_sel_hi:[1,0,1]
	v_pk_fma_f16 v72, v5, v9, v72 op_sel:[0,1,0]
	v_pk_fma_f16 v73, v6, v8, v73 op_sel_hi:[1,0,1]
	v_pk_fma_f16 v74, v6, v8, v74 op_sel:[0,1,0]
	v_pk_fma_f16 v75, v6, v9, v75 op_sel_hi:[1,0,1]
	v_pk_fma_f16 v76, v6, v9, v76 op_sel:[0,1,0]
	v_pk_fma_f16 v77, v7, v8, v77 op_sel_hi:[1,0,1]
	v_pk_fma_f16 v8, v7, v8, v79 op_sel:[0,1,0]
	v_pk_fma_f16 v78, v7, v9, v78 op_sel_hi:[1,0,1]
	v_pk_fma_f16 v9, v7, v9, v80 op_sel:[0,1,0]
	ds_load_2addr_b64 v[4:7], v63 offset0:64 offset1:96
	s_waitcnt lgkmcnt(0)
	v_pk_fma_f16 v65, v4, v10, v65 op_sel_hi:[1,0,1]
	v_pk_fma_f16 v66, v4, v10, v66 op_sel:[0,1,0]
	v_pk_fma_f16 v67, v4, v11, v67 op_sel_hi:[1,0,1]
	v_pk_fma_f16 v68, v4, v11, v68 op_sel:[0,1,0]
	;; [unrolled: 2-line block ×8, first 2 shown]
	ds_load_2addr_b64 v[4:7], v63 offset0:128 offset1:160
	ds_load_b128 v[8:11], v50 offset:976
	s_waitcnt lgkmcnt(0)
	v_pk_fma_f16 v65, v4, v8, v65 op_sel_hi:[1,0,1]
	v_pk_fma_f16 v66, v4, v8, v66 op_sel:[0,1,0]
	v_pk_fma_f16 v67, v4, v9, v67 op_sel_hi:[1,0,1]
	v_pk_fma_f16 v68, v4, v9, v68 op_sel:[0,1,0]
	;; [unrolled: 2-line block ×8, first 2 shown]
	ds_load_2addr_b64 v[4:7], v63 offset0:192 offset1:224
	s_waitcnt lgkmcnt(0)
	v_pk_fma_f16 v65, v4, v10, v65 op_sel_hi:[1,0,1]
	v_pk_fma_f16 v66, v4, v10, v66 op_sel:[0,1,0]
	v_pk_fma_f16 v67, v4, v11, v67 op_sel_hi:[1,0,1]
	v_pk_fma_f16 v68, v4, v11, v68 op_sel:[0,1,0]
	;; [unrolled: 2-line block ×8, first 2 shown]
	ds_load_2addr_b64 v[4:7], v64 offset1:32
	ds_load_b128 v[8:11], v50 offset:992
	s_waitcnt lgkmcnt(0)
	v_pk_fma_f16 v65, v4, v8, v65 op_sel_hi:[1,0,1]
	v_pk_fma_f16 v66, v4, v8, v66 op_sel:[0,1,0]
	v_pk_fma_f16 v67, v4, v9, v67 op_sel_hi:[1,0,1]
	v_pk_fma_f16 v68, v4, v9, v68 op_sel:[0,1,0]
	;; [unrolled: 2-line block ×8, first 2 shown]
	ds_load_2addr_b64 v[4:7], v64 offset0:64 offset1:96
	s_waitcnt lgkmcnt(0)
	v_pk_fma_f16 v65, v4, v10, v65 op_sel_hi:[1,0,1]
	v_pk_fma_f16 v66, v4, v10, v66 op_sel:[0,1,0]
	v_pk_fma_f16 v67, v4, v11, v67 op_sel_hi:[1,0,1]
	v_pk_fma_f16 v68, v4, v11, v68 op_sel:[0,1,0]
	;; [unrolled: 2-line block ×8, first 2 shown]
	ds_load_2addr_b64 v[4:7], v64 offset0:128 offset1:160
	ds_load_b128 v[8:11], v50 offset:1008
	s_waitcnt lgkmcnt(0)
	v_pk_fma_f16 v65, v4, v8, v65 op_sel_hi:[1,0,1]
	v_pk_fma_f16 v66, v4, v8, v66 op_sel:[0,1,0]
	v_pk_fma_f16 v67, v4, v9, v67 op_sel_hi:[1,0,1]
	v_pk_fma_f16 v68, v4, v9, v68 op_sel:[0,1,0]
	;; [unrolled: 2-line block ×8, first 2 shown]
	ds_load_2addr_b64 v[4:7], v64 offset0:192 offset1:224
	s_waitcnt lgkmcnt(0)
	s_barrier
	buffer_gl0_inv
	s_load_b32 s2, s[12:13], 0x4
	v_pk_fma_f16 v77, v4, v10, v65 op_sel_hi:[1,0,1]
	v_pk_fma_f16 v73, v4, v10, v66 op_sel:[0,1,0]
	v_pk_fma_f16 v69, v4, v11, v67 op_sel_hi:[1,0,1]
	v_pk_fma_f16 v67, v4, v11, v68 op_sel:[0,1,0]
	v_add_f32_e32 v4, v84, v88
	v_pk_fma_f16 v80, v5, v10, v101 op_sel_hi:[1,0,1]
	v_pk_fma_f16 v76, v5, v10, v70 op_sel:[0,1,0]
	v_pk_fma_f16 v72, v5, v11, v71 op_sel_hi:[1,0,1]
	v_pk_fma_f16 v68, v5, v11, v102 op_sel:[0,1,0]
	v_dual_add_f32 v4, v92, v4 :: v_dual_mov_b32 v5, v42
	s_waitcnt lgkmcnt(0)
	s_lshl_b32 s2, s2, 7
	v_pk_fma_f16 v78, v6, v10, v103 op_sel_hi:[1,0,1]
	v_pk_fma_f16 v74, v6, v10, v74 op_sel:[0,1,0]
	v_add_f32_e32 v42, v96, v4
	v_add_f32_e32 v4, v83, v87
	v_pk_fma_f16 v70, v6, v11, v75 op_sel_hi:[1,0,1]
	v_pk_fma_f16 v66, v6, v11, v104 op_sel:[0,1,0]
	v_pk_fma_f16 v79, v7, v10, v105 op_sel_hi:[1,0,1]
	v_fmac_f32_e32 v42, v5, v100
	v_dual_add_f32 v4, v91, v4 :: v_dual_mov_b32 v5, v41
	v_pk_fma_f16 v75, v7, v10, v8 op_sel:[0,1,0]
	v_pk_fma_f16 v71, v7, v11, v106 op_sel_hi:[1,0,1]
	v_pk_fma_f16 v65, v7, v11, v9 op_sel:[0,1,0]
	s_delay_alu instid0(VALU_DEP_4) | instskip(SKIP_1) | instid1(SALU_CYCLE_1)
	v_dual_add_f32 v41, v95, v4 :: v_dual_add_f32 v4, v82, v86
	s_add_i32 s9, s2, s9
	s_cmp_ge_i32 s9, s34
	s_delay_alu instid0(VALU_DEP_1) | instskip(NEXT) | instid1(VALU_DEP_1)
	v_dual_fmac_f32 v41, v5, v99 :: v_dual_add_f32 v4, v90, v4
	v_dual_mov_b32 v5, v40 :: v_dual_add_f32 v40, v94, v4
	v_add_f32_e32 v4, v81, v85
	s_delay_alu instid0(VALU_DEP_2) | instskip(NEXT) | instid1(VALU_DEP_2)
	v_fmac_f32_e32 v40, v5, v98
	v_dual_add_f32 v4, v89, v4 :: v_dual_mov_b32 v5, v39
	s_delay_alu instid0(VALU_DEP_1) | instskip(NEXT) | instid1(VALU_DEP_1)
	v_add_f32_e32 v4, v93, v4
	v_mov_b32_e32 v39, v4
	s_delay_alu instid0(VALU_DEP_1)
	v_fmac_f32_e32 v39, v5, v97
	s_cbranch_scc0 .LBB0_17
; %bb.18:
	v_dual_mov_b32 v7, 32 :: v_dual_mov_b32 v8, v33
.LBB0_19:
	s_delay_alu instid0(VALU_DEP_1)
	v_cmp_lt_i32_e32 vcc_lo, v38, v7
	s_cmp_lg_u64 s[24:25], 0
	s_cselect_b32 s2, -1, 0
	s_cmp_eq_u32 s14, 0
	v_cndmask_b32_e32 v4, v8, v38, vcc_lo
	v_cmp_lt_i32_e32 vcc_lo, v37, v7
	s_cselect_b32 s3, -1, 0
	s_delay_alu instid0(SALU_CYCLE_1) | instskip(NEXT) | instid1(VALU_DEP_2)
	s_and_b32 s2, s3, s2
	v_lshlrev_b32_e32 v4, 2, v4
	ds_bpermute_b32 v9, v4, v40
	s_waitcnt lgkmcnt(0)
	v_add_f32_e32 v9, v40, v9
	ds_bpermute_b32 v5, v4, v42
	ds_bpermute_b32 v6, v4, v41
	;; [unrolled: 1-line block ×3, first 2 shown]
	s_waitcnt lgkmcnt(2)
	v_add_f32_e32 v5, v42, v5
	v_cndmask_b32_e32 v10, v8, v37, vcc_lo
	s_waitcnt lgkmcnt(1)
	v_add_f32_e32 v6, v41, v6
	v_cmp_lt_i32_e32 vcc_lo, v36, v7
	s_delay_alu instid0(VALU_DEP_3)
	v_lshlrev_b32_e32 v10, 2, v10
	ds_bpermute_b32 v15, v10, v9
	s_waitcnt lgkmcnt(0)
	v_add_f32_e32 v9, v9, v15
	ds_bpermute_b32 v11, v10, v5
	ds_bpermute_b32 v14, v10, v6
	v_cndmask_b32_e32 v16, v8, v36, vcc_lo
	v_cmp_lt_i32_e32 vcc_lo, v35, v7
	s_waitcnt lgkmcnt(1)
	s_delay_alu instid0(VALU_DEP_2)
	v_dual_add_f32 v5, v5, v11 :: v_dual_lshlrev_b32 v16, 2, v16
	v_add_f32_e32 v4, v39, v4
	ds_bpermute_b32 v10, v10, v4
	s_waitcnt lgkmcnt(0)
	v_add_f32_e32 v4, v4, v10
	ds_bpermute_b32 v10, v16, v5
	ds_bpermute_b32 v15, v16, v4
	s_waitcnt lgkmcnt(0)
	v_dual_add_f32 v5, v5, v10 :: v_dual_add_f32 v4, v4, v15
	v_add_f32_e32 v6, v6, v14
	ds_bpermute_b32 v14, v16, v9
	ds_bpermute_b32 v11, v16, v6
	v_cndmask_b32_e32 v16, v8, v35, vcc_lo
	v_cmp_lt_i32_e32 vcc_lo, v34, v7
	s_delay_alu instid0(VALU_DEP_2)
	v_dual_cndmask_b32 v7, v8, v34 :: v_dual_lshlrev_b32 v16, 2, v16
	s_and_b32 vcc_lo, exec_lo, s2
	s_mov_b32 s2, 0
	ds_bpermute_b32 v15, v16, v4
	ds_bpermute_b32 v10, v16, v5
	v_lshlrev_b32_e32 v7, 2, v7
	s_waitcnt lgkmcnt(3)
	v_add_f32_e32 v9, v9, v14
	ds_bpermute_b32 v14, v16, v9
	s_waitcnt lgkmcnt(1)
	v_add_f32_e32 v5, v5, v10
	s_waitcnt lgkmcnt(0)
	v_dual_add_f32 v8, v9, v14 :: v_dual_add_f32 v9, v4, v15
	v_add_f32_e32 v6, v6, v11
	ds_bpermute_b32 v4, v7, v5
	v_add_nc_u32_e32 v14, s15, v32
	ds_bpermute_b32 v11, v16, v6
	s_waitcnt lgkmcnt(1)
	v_add_f32_e32 v4, v5, v4
	s_waitcnt lgkmcnt(0)
	v_add_f32_e32 v6, v6, v11
	ds_bpermute_b32 v11, v7, v8
	ds_bpermute_b32 v10, v7, v6
	;; [unrolled: 1-line block ×3, first 2 shown]
	s_waitcnt lgkmcnt(1)
	v_dual_add_f32 v5, v6, v10 :: v_dual_add_f32 v6, v8, v11
	s_waitcnt lgkmcnt(0)
	v_add_f32_e32 v7, v9, v7
	s_cbranch_vccnz .LBB0_21
; %bb.20:
	s_delay_alu instid0(VALU_DEP_1)
	v_dual_mov_b32 v11, v7 :: v_dual_mov_b32 v8, v4
	v_dual_mov_b32 v10, v6 :: v_dual_add_nc_u32 v15, s15, v32
	v_mov_b32_e32 v9, v5
	s_and_not1_b32 vcc_lo, exec_lo, s2
	s_cbranch_vccz .LBB0_22
	s_branch .LBB0_23
.LBB0_21:
                                        ; implicit-def: $vgpr15
                                        ; implicit-def: $vgpr8_vgpr9_vgpr10_vgpr11
.LBB0_22:
	v_ashrrev_i32_e32 v15, 31, v14
	v_max_f32_e32 v18, v2, v2
	s_delay_alu instid0(VALU_DEP_2) | instskip(SKIP_1) | instid1(VALU_DEP_2)
	v_lshlrev_b64 v[8:9], 2, v[14:15]
	v_max_f32_e32 v15, v0, v0
	v_add_co_u32 v8, vcc_lo, s24, v8
	s_delay_alu instid0(VALU_DEP_3)
	v_add_co_ci_u32_e32 v9, vcc_lo, s25, v9, vcc_lo
	global_load_b128 v[8:11], v[8:9], off
	v_max_f32_e32 v17, v1, v1
	s_waitcnt vmcnt(0)
	v_dual_max_f32 v19, v3, v3 :: v_dual_max_f32 v20, v9, v9
	v_dual_max_f32 v16, v8, v8 :: v_dual_max_f32 v21, v10, v10
	s_delay_alu instid0(VALU_DEP_2) | instskip(NEXT) | instid1(VALU_DEP_2)
	v_dual_max_f32 v22, v11, v11 :: v_dual_max_f32 v17, v17, v20
	v_dual_max_f32 v16, v15, v16 :: v_dual_mov_b32 v15, v14
	s_delay_alu instid0(VALU_DEP_2) | instskip(NEXT) | instid1(VALU_DEP_2)
	v_dual_max_f32 v18, v18, v21 :: v_dual_max_f32 v19, v19, v22
	v_dual_sub_f32 v9, v9, v17 :: v_dual_sub_f32 v14, v0, v16
	v_sub_f32_e32 v8, v8, v16
	s_delay_alu instid0(VALU_DEP_3) | instskip(NEXT) | instid1(VALU_DEP_4)
	v_dual_sub_f32 v20, v1, v17 :: v_dual_sub_f32 v21, v2, v18
	v_sub_f32_e32 v22, v3, v19
	v_dual_mov_b32 v0, v16 :: v_dual_mov_b32 v3, v19
	v_dual_sub_f32 v10, v10, v18 :: v_dual_sub_f32 v11, v11, v19
	v_dual_mov_b32 v1, v17 :: v_dual_mov_b32 v2, v18
	v_dual_mul_f32 v17, 0x3fb8aa3b, v8 :: v_dual_mul_f32 v16, 0x3fb8aa3b, v14
	v_dual_mul_f32 v19, 0x3fb8aa3b, v9 :: v_dual_mul_f32 v18, 0x3fb8aa3b, v20
	v_mul_f32_e32 v23, 0x3fb8aa3b, v21
	v_dual_mul_f32 v25, 0x3fb8aa3b, v22 :: v_dual_mul_f32 v26, 0x3fb8aa3b, v11
	s_delay_alu instid0(VALU_DEP_3)
	v_rndne_f32_e32 v35, v19
	v_mul_f32_e32 v24, 0x3fb8aa3b, v10
	v_fma_f32 v34, 0x3fb8aa3b, v9, -v19
	v_fma_f32 v36, 0x3fb8aa3b, v21, -v23
	v_rndne_f32_e32 v37, v23
	v_sub_f32_e32 v19, v19, v35
	v_fma_f32 v38, 0x3fb8aa3b, v10, -v24
	v_fma_f32 v27, 0x3fb8aa3b, v14, -v16
	v_rndne_f32_e32 v28, v16
	v_fmac_f32_e32 v36, 0x32a5705f, v21
	s_delay_alu instid0(VALU_DEP_4) | instskip(SKIP_3) | instid1(VALU_DEP_4)
	v_dual_sub_f32 v23, v23, v37 :: v_dual_fmac_f32 v38, 0x32a5705f, v10
	v_fmac_f32_e32 v34, 0x32a5705f, v9
	v_fma_f32 v29, 0x3fb8aa3b, v8, -v17
	v_rndne_f32_e32 v30, v17
	v_add_f32_e32 v23, v23, v36
	v_dual_fmac_f32 v27, 0x32a5705f, v14 :: v_dual_sub_f32 v16, v16, v28
	v_add_f32_e32 v19, v19, v34
	v_fma_f32 v32, 0x3fb8aa3b, v20, -v18
	v_rndne_f32_e32 v33, v18
	v_fma_f32 v40, 0x3fb8aa3b, v22, -v25
	v_fmac_f32_e32 v29, 0x32a5705f, v8
	s_delay_alu instid0(VALU_DEP_4)
	v_dual_sub_f32 v17, v17, v30 :: v_dual_fmac_f32 v32, 0x32a5705f, v20
	v_add_f32_e32 v16, v16, v27
	v_exp_f32_e32 v19, v19
	v_sub_f32_e32 v18, v18, v33
	v_cvt_i32_f32_e32 v35, v35
	v_dual_fmac_f32 v40, 0x32a5705f, v22 :: v_dual_add_f32 v17, v17, v29
	v_exp_f32_e32 v16, v16
	v_cvt_i32_f32_e32 v28, v28
	v_cvt_i32_f32_e32 v30, v30
	v_cmp_ngt_f32_e32 vcc_lo, 0xc2ce8ed0, v14
	v_exp_f32_e32 v17, v17
	s_delay_alu instid0(TRANS32_DEP_3)
	v_ldexp_f32 v19, v19, v35
	v_add_f32_e32 v18, v18, v32
	v_rndne_f32_e32 v43, v26
	v_cvt_i32_f32_e32 v33, v33
	v_rndne_f32_e32 v39, v24
	v_ldexp_f32 v16, v16, v28
	v_exp_f32_e32 v18, v18
	v_fma_f32 v42, 0x3fb8aa3b, v11, -v26
	v_exp_f32_e32 v23, v23
	v_ldexp_f32 v17, v17, v30
	v_cndmask_b32_e32 v16, 0, v16, vcc_lo
	v_cmp_ngt_f32_e32 vcc_lo, 0xc2ce8ed0, v8
	v_sub_f32_e32 v26, v26, v43
	v_rndne_f32_e32 v41, v25
	v_cvt_i32_f32_e32 v37, v37
	v_sub_f32_e32 v24, v24, v39
	v_ldexp_f32 v18, v18, v33
	v_cndmask_b32_e32 v17, 0, v17, vcc_lo
	v_sub_f32_e32 v25, v25, v41
	v_cmp_ngt_f32_e32 vcc_lo, 0xc2ce8ed0, v20
	v_ldexp_f32 v23, v23, v37
	v_fmac_f32_e32 v42, 0x32a5705f, v11
	v_cvt_i32_f32_e32 v39, v39
	v_dual_add_f32 v25, v25, v40 :: v_dual_cndmask_b32 v18, 0, v18
	v_cmp_ngt_f32_e32 vcc_lo, 0xc2ce8ed0, v9
	v_cvt_i32_f32_e32 v27, v41
	v_cvt_i32_f32_e32 v29, v43
	s_delay_alu instid0(VALU_DEP_4) | instskip(SKIP_4) | instid1(VALU_DEP_2)
	v_exp_f32_e32 v25, v25
	v_cndmask_b32_e32 v19, 0, v19, vcc_lo
	v_cmp_ngt_f32_e32 vcc_lo, 0xc2ce8ed0, v21
	v_add_f32_e32 v24, v24, v38
	v_dual_add_f32 v26, v26, v42 :: v_dual_cndmask_b32 v23, 0, v23
	v_exp_f32_e32 v24, v24
	s_delay_alu instid0(VALU_DEP_1) | instskip(SKIP_1) | instid1(TRANS32_DEP_3)
	v_exp_f32_e32 v26, v26
	v_cmp_ngt_f32_e32 vcc_lo, 0xc2ce8ed0, v10
	v_ldexp_f32 v25, v25, v27
	s_waitcnt_depctr 0xfff
	v_ldexp_f32 v24, v24, v39
	v_ldexp_f32 v26, v26, v29
	s_delay_alu instid0(VALU_DEP_2)
	v_cndmask_b32_e32 v24, 0, v24, vcc_lo
	v_cmp_ngt_f32_e32 vcc_lo, 0xc2ce8ed0, v22
	v_cndmask_b32_e32 v25, 0, v25, vcc_lo
	v_cmp_ngt_f32_e32 vcc_lo, 0xc2ce8ed0, v11
	v_cndmask_b32_e32 v26, 0, v26, vcc_lo
	v_cmp_nlt_f32_e32 vcc_lo, 0x42b17218, v14
	v_cndmask_b32_e32 v14, 0x7f800000, v16, vcc_lo
	v_cmp_nlt_f32_e32 vcc_lo, 0x42b17218, v8
	;; [unrolled: 2-line block ×3, first 2 shown]
	s_delay_alu instid0(VALU_DEP_2)
	v_fmac_f32_e32 v8, v4, v14
	v_cndmask_b32_e32 v16, 0x7f800000, v18, vcc_lo
	v_cmp_nlt_f32_e32 vcc_lo, 0x42b17218, v9
	v_cvt_f16_f32_e32 v4, v14
	v_cndmask_b32_e32 v9, 0x7f800000, v19, vcc_lo
	v_cmp_nlt_f32_e32 vcc_lo, 0x42b17218, v21
	s_delay_alu instid0(VALU_DEP_3)
	v_pk_mul_f16 v77, v4, v77 op_sel_hi:[0,1]
	v_pk_mul_f16 v80, v4, v80 op_sel_hi:[0,1]
	;; [unrolled: 1-line block ×3, first 2 shown]
	v_fmac_f32_e32 v9, v5, v16
	v_cndmask_b32_e32 v17, 0x7f800000, v23, vcc_lo
	v_cmp_nlt_f32_e32 vcc_lo, 0x42b17218, v10
	v_cvt_f16_f32_e32 v5, v16
	v_pk_mul_f16 v79, v4, v79 op_sel_hi:[0,1]
	v_mov_b32_e32 v4, v8
	s_delay_alu instid0(VALU_DEP_3)
	v_pk_mul_f16 v73, v5, v73 op_sel_hi:[0,1]
	v_pk_mul_f16 v76, v5, v76 op_sel_hi:[0,1]
	;; [unrolled: 1-line block ×4, first 2 shown]
	v_dual_mov_b32 v5, v9 :: v_dual_cndmask_b32 v10, 0x7f800000, v24
	v_cmp_nlt_f32_e32 vcc_lo, 0x42b17218, v22
	s_delay_alu instid0(VALU_DEP_2) | instskip(SKIP_4) | instid1(VALU_DEP_2)
	v_fmac_f32_e32 v10, v6, v17
	v_cndmask_b32_e32 v18, 0x7f800000, v25, vcc_lo
	v_cmp_nlt_f32_e32 vcc_lo, 0x42b17218, v11
	v_cvt_f16_f32_e32 v6, v17
	v_cndmask_b32_e32 v11, 0x7f800000, v26, vcc_lo
	v_pk_mul_f16 v69, v6, v69 op_sel_hi:[0,1]
	v_pk_mul_f16 v72, v6, v72 op_sel_hi:[0,1]
	;; [unrolled: 1-line block ×4, first 2 shown]
	v_fmac_f32_e32 v11, v7, v18
	v_cvt_f16_f32_e32 v7, v18
	v_mov_b32_e32 v6, v10
	s_delay_alu instid0(VALU_DEP_2)
	v_pk_mul_f16 v67, v7, v67 op_sel_hi:[0,1]
	v_pk_mul_f16 v68, v7, v68 op_sel_hi:[0,1]
	;; [unrolled: 1-line block ×4, first 2 shown]
	v_mov_b32_e32 v7, v11
.LBB0_23:
	s_load_b32 s1, s[0:1], 0xd4
	v_mov_b32_e32 v14, 1.0
	s_waitcnt lgkmcnt(0)
	s_cmp_lg_u32 s1, 1
	s_cselect_b32 s3, -1, 0
	s_cmp_eq_u32 s1, 1
	s_cselect_b32 s2, -1, 0
	s_and_b32 vcc_lo, exec_lo, s3
	s_cbranch_vccnz .LBB0_25
; %bb.24:
	v_div_scale_f32 v14, null, v4, v4, 1.0
	s_delay_alu instid0(VALU_DEP_1) | instskip(SKIP_2) | instid1(VALU_DEP_1)
	v_rcp_f32_e32 v16, v14
	s_waitcnt_depctr 0xfff
	v_fma_f32 v17, -v14, v16, 1.0
	v_fmac_f32_e32 v16, v17, v16
	v_div_scale_f32 v17, vcc_lo, 1.0, v4, 1.0
	s_delay_alu instid0(VALU_DEP_1) | instskip(NEXT) | instid1(VALU_DEP_1)
	v_mul_f32_e32 v18, v17, v16
	v_fma_f32 v19, -v14, v18, v17
	s_delay_alu instid0(VALU_DEP_1) | instskip(NEXT) | instid1(VALU_DEP_1)
	v_fmac_f32_e32 v18, v19, v16
	v_fma_f32 v14, -v14, v18, v17
	s_delay_alu instid0(VALU_DEP_1) | instskip(NEXT) | instid1(VALU_DEP_1)
	v_div_fmas_f32 v14, v14, v16, v18
	v_div_fixup_f32 v14, v14, v4, 1.0
.LBB0_25:
	v_mad_u64_u32 v[16:17], null, s33, s10, v[12:13]
	v_cmp_eq_u32_e32 vcc_lo, 0, v13
	v_lshrrev_b32_e32 v4, 16, v80
	v_lshrrev_b32_e32 v19, 16, v79
	;; [unrolled: 1-line block ×3, first 2 shown]
	v_cvt_f32_f16_e32 v22, v78
	s_delay_alu instid0(VALU_DEP_4)
	v_cvt_f32_f16_e32 v4, v4
	v_mad_u64_u32 v[17:18], null, v16, s11, v[15:16]
	v_cvt_f32_f16_e32 v15, v80
	v_lshrrev_b32_e32 v16, 16, v77
	v_mov_b32_e32 v24, 0
	v_cvt_f32_f16_e32 v18, v77
	v_cvt_f32_f16_e32 v27, v19
	v_mul_f32_e32 v19, v14, v22
	v_mad_u64_u32 v[12:13], null, s1, v17, s[14:15]
	v_mul_f32_e32 v17, v14, v15
	v_cvt_f32_f16_e32 v13, v79
	v_cvt_f32_f16_e32 v16, v16
	v_mul_f32_e32 v15, v14, v18
	v_mul_f32_e32 v22, v14, v27
	;; [unrolled: 1-line block ×3, first 2 shown]
	v_lshl_add_u32 v23, v12, 8, v31
	v_mul_f32_e32 v21, v14, v13
	v_cvt_f32_f16_e32 v13, v20
	v_mul_f32_e32 v16, v14, v16
	s_delay_alu instid0(VALU_DEP_4) | instskip(NEXT) | instid1(VALU_DEP_3)
	v_lshlrev_b64 v[25:26], 2, v[23:24]
	v_dual_mul_f32 v20, v14, v13 :: v_dual_add_nc_u32 v23, 0x80, v23
	s_delay_alu instid0(VALU_DEP_1) | instskip(NEXT) | instid1(VALU_DEP_3)
	v_lshlrev_b64 v[13:14], 2, v[23:24]
	v_add_co_u32 v23, s0, s28, v25
	s_delay_alu instid0(VALU_DEP_1) | instskip(NEXT) | instid1(VALU_DEP_3)
	v_add_co_ci_u32_e64 v24, s0, s29, v26, s0
	v_add_co_u32 v13, s0, s28, v13
	s_delay_alu instid0(VALU_DEP_1)
	v_add_co_ci_u32_e64 v14, s0, s29, v14, s0
	s_and_b32 s0, vcc_lo, s3
	s_clause 0x1
	global_store_b128 v[23:24], v[15:18], off
	global_store_b128 v[13:14], v[19:22], off
	s_and_saveexec_b32 s3, s0
	s_cbranch_execz .LBB0_27
; %bb.26:
	v_ashrrev_i32_e32 v13, 31, v12
	v_mov_b32_e32 v15, v0
	v_mov_b32_e32 v16, v8
	s_delay_alu instid0(VALU_DEP_3) | instskip(NEXT) | instid1(VALU_DEP_1)
	v_lshlrev_b64 v[13:14], 3, v[12:13]
	v_add_co_u32 v13, vcc_lo, s30, v13
	s_delay_alu instid0(VALU_DEP_2)
	v_add_co_ci_u32_e32 v14, vcc_lo, s31, v14, vcc_lo
	global_store_b64 v[13:14], v[15:16], off
.LBB0_27:
	s_or_b32 exec_lo, exec_lo, s3
	v_cndmask_b32_e64 v13, 0, 1, s2
	v_mov_b32_e32 v0, 1.0
	s_and_not1_b32 vcc_lo, exec_lo, s2
	s_cbranch_vccnz .LBB0_29
; %bb.28:
	v_div_scale_f32 v0, null, v5, v5, 1.0
	s_delay_alu instid0(VALU_DEP_1) | instskip(SKIP_2) | instid1(VALU_DEP_1)
	v_rcp_f32_e32 v4, v0
	s_waitcnt_depctr 0xfff
	v_fma_f32 v8, -v0, v4, 1.0
	v_fmac_f32_e32 v4, v8, v4
	v_div_scale_f32 v8, vcc_lo, 1.0, v5, 1.0
	s_delay_alu instid0(VALU_DEP_1) | instskip(NEXT) | instid1(VALU_DEP_1)
	v_mul_f32_e32 v14, v8, v4
	v_fma_f32 v15, -v0, v14, v8
	s_delay_alu instid0(VALU_DEP_1) | instskip(NEXT) | instid1(VALU_DEP_1)
	v_fmac_f32_e32 v14, v15, v4
	v_fma_f32 v0, -v0, v14, v8
	s_delay_alu instid0(VALU_DEP_1) | instskip(NEXT) | instid1(VALU_DEP_1)
	v_div_fmas_f32 v0, v0, v4, v14
	v_div_fixup_f32 v0, v0, v5, 1.0
.LBB0_29:
	v_lshrrev_b32_e32 v5, 16, v76
	v_dual_mov_b32 v19, 0 :: v_dual_add_nc_u32 v4, s1, v12
	v_lshrrev_b32_e32 v8, 16, v73
	v_cvt_f32_f16_e32 v12, v76
	s_delay_alu instid0(VALU_DEP_4) | instskip(NEXT) | instid1(VALU_DEP_4)
	v_cvt_f32_f16_e32 v5, v5
	v_lshl_add_u32 v18, v4, 8, v31
	v_cvt_f32_f16_e32 v14, v73
	v_cvt_f32_f16_e32 v8, v8
	v_mul_f32_e32 v16, v0, v12
	v_mul_f32_e32 v17, v0, v5
	v_lshlrev_b64 v[20:21], 2, v[18:19]
	s_delay_alu instid0(VALU_DEP_4) | instskip(SKIP_3) | instid1(VALU_DEP_4)
	v_dual_mul_f32 v15, v0, v8 :: v_dual_add_nc_u32 v18, 0x80, v18
	v_lshrrev_b32_e32 v5, 16, v75
	v_lshrrev_b32_e32 v8, 16, v74
	v_cvt_f32_f16_e32 v12, v75
	v_lshlrev_b64 v[24:25], 2, v[18:19]
	v_add_co_u32 v22, vcc_lo, s28, v20
	v_cvt_f32_f16_e32 v5, v5
	v_cvt_f32_f16_e32 v8, v8
	;; [unrolled: 1-line block ×3, first 2 shown]
	v_add_co_ci_u32_e32 v23, vcc_lo, s29, v21, vcc_lo
	v_add_co_u32 v24, vcc_lo, s28, v24
	v_mul_f32_e32 v14, v0, v14
	v_mul_f32_e32 v21, v0, v5
	;; [unrolled: 1-line block ×5, first 2 shown]
	v_add_co_ci_u32_e32 v25, vcc_lo, s29, v25, vcc_lo
	s_clause 0x1
	global_store_b128 v[22:23], v[14:17], off
	global_store_b128 v[24:25], v[18:21], off
	s_and_saveexec_b32 s2, s0
	s_cbranch_execz .LBB0_31
; %bb.30:
	v_ashrrev_i32_e32 v5, 31, v4
	v_mov_b32_e32 v8, v1
	s_delay_alu instid0(VALU_DEP_2) | instskip(NEXT) | instid1(VALU_DEP_1)
	v_lshlrev_b64 v[14:15], 3, v[4:5]
	v_add_co_u32 v14, vcc_lo, s30, v14
	s_delay_alu instid0(VALU_DEP_2)
	v_add_co_ci_u32_e32 v15, vcc_lo, s31, v15, vcc_lo
	global_store_b64 v[14:15], v[8:9], off
.LBB0_31:
	s_or_b32 exec_lo, exec_lo, s2
	v_cmp_ne_u32_e32 vcc_lo, 1, v13
	v_mov_b32_e32 v1, 1.0
	s_cbranch_vccnz .LBB0_33
; %bb.32:
	v_div_scale_f32 v0, null, v6, v6, 1.0
	s_delay_alu instid0(VALU_DEP_1) | instskip(SKIP_2) | instid1(VALU_DEP_1)
	v_rcp_f32_e32 v1, v0
	s_waitcnt_depctr 0xfff
	v_fma_f32 v5, -v0, v1, 1.0
	v_fmac_f32_e32 v1, v5, v1
	v_div_scale_f32 v5, vcc_lo, 1.0, v6, 1.0
	s_delay_alu instid0(VALU_DEP_1) | instskip(NEXT) | instid1(VALU_DEP_1)
	v_mul_f32_e32 v8, v5, v1
	v_fma_f32 v9, -v0, v8, v5
	s_delay_alu instid0(VALU_DEP_1) | instskip(NEXT) | instid1(VALU_DEP_1)
	v_fmac_f32_e32 v8, v9, v1
	v_fma_f32 v0, -v0, v8, v5
	s_delay_alu instid0(VALU_DEP_1) | instskip(NEXT) | instid1(VALU_DEP_1)
	v_div_fmas_f32 v0, v0, v1, v8
	v_div_fixup_f32 v1, v0, v6, 1.0
.LBB0_33:
	v_lshrrev_b32_e32 v6, 16, v72
	v_dual_mov_b32 v5, 0 :: v_dual_add_nc_u32 v0, s1, v4
	v_lshrrev_b32_e32 v8, 16, v69
	v_cvt_f32_f16_e32 v9, v72
	s_delay_alu instid0(VALU_DEP_4) | instskip(NEXT) | instid1(VALU_DEP_4)
	v_cvt_f32_f16_e32 v6, v6
	v_lshl_add_u32 v4, v0, 8, v31
	v_cvt_f32_f16_e32 v14, v69
	v_cvt_f32_f16_e32 v12, v8
	v_mul_f32_e32 v16, v1, v9
	v_mul_f32_e32 v17, v1, v6
	v_lshlrev_b64 v[8:9], 2, v[4:5]
	v_add_nc_u32_e32 v4, 0x80, v4
	v_mul_f32_e32 v15, v1, v12
	v_lshrrev_b32_e32 v6, 16, v71
	v_lshrrev_b32_e32 v12, 16, v70
	v_cvt_f32_f16_e32 v18, v71
	v_lshlrev_b64 v[4:5], 2, v[4:5]
	v_add_co_u32 v8, vcc_lo, s28, v8
	v_cvt_f32_f16_e32 v6, v6
	v_cvt_f32_f16_e32 v12, v12
	v_cvt_f32_f16_e32 v22, v70
	v_add_co_ci_u32_e32 v9, vcc_lo, s29, v9, vcc_lo
	v_add_co_u32 v4, vcc_lo, s28, v4
	v_mul_f32_e32 v14, v1, v14
	v_mul_f32_e32 v21, v1, v6
	;; [unrolled: 1-line block ×5, first 2 shown]
	v_add_co_ci_u32_e32 v5, vcc_lo, s29, v5, vcc_lo
	s_clause 0x1
	global_store_b128 v[8:9], v[14:17], off
	global_store_b128 v[4:5], v[18:21], off
	s_and_saveexec_b32 s2, s0
	s_cbranch_execz .LBB0_35
; %bb.34:
	v_ashrrev_i32_e32 v1, 31, v0
	v_mov_b32_e32 v9, v2
	s_delay_alu instid0(VALU_DEP_2) | instskip(NEXT) | instid1(VALU_DEP_1)
	v_lshlrev_b64 v[4:5], 3, v[0:1]
	v_add_co_u32 v4, vcc_lo, s30, v4
	s_delay_alu instid0(VALU_DEP_2)
	v_add_co_ci_u32_e32 v5, vcc_lo, s31, v5, vcc_lo
	global_store_b64 v[4:5], v[9:10], off
.LBB0_35:
	s_or_b32 exec_lo, exec_lo, s2
	v_cmp_ne_u32_e32 vcc_lo, 1, v13
	v_mov_b32_e32 v1, 1.0
	s_cbranch_vccnz .LBB0_37
; %bb.36:
	v_div_scale_f32 v1, null, v7, v7, 1.0
	s_delay_alu instid0(VALU_DEP_1) | instskip(SKIP_2) | instid1(VALU_DEP_1)
	v_rcp_f32_e32 v2, v1
	s_waitcnt_depctr 0xfff
	v_fma_f32 v4, -v1, v2, 1.0
	v_fmac_f32_e32 v2, v4, v2
	v_div_scale_f32 v4, vcc_lo, 1.0, v7, 1.0
	s_delay_alu instid0(VALU_DEP_1) | instskip(NEXT) | instid1(VALU_DEP_1)
	v_mul_f32_e32 v5, v4, v2
	v_fma_f32 v6, -v1, v5, v4
	s_delay_alu instid0(VALU_DEP_1) | instskip(NEXT) | instid1(VALU_DEP_1)
	v_fmac_f32_e32 v5, v6, v2
	v_fma_f32 v1, -v1, v5, v4
	s_delay_alu instid0(VALU_DEP_1) | instskip(NEXT) | instid1(VALU_DEP_1)
	v_div_fmas_f32 v1, v1, v2, v5
	v_div_fixup_f32 v1, v1, v7, 1.0
.LBB0_37:
	v_lshrrev_b32_e32 v2, 16, v68
	v_dual_mov_b32 v9, 0 :: v_dual_add_nc_u32 v0, s1, v0
	v_lshrrev_b32_e32 v4, 16, v67
	v_cvt_f32_f16_e32 v5, v68
	s_delay_alu instid0(VALU_DEP_4) | instskip(NEXT) | instid1(VALU_DEP_4)
	v_cvt_f32_f16_e32 v2, v2
	v_lshl_add_u32 v8, v0, 8, v31
	v_cvt_f32_f16_e32 v10, v67
	v_cvt_f32_f16_e32 v4, v4
	v_mul_f32_e32 v6, v1, v5
	v_mul_f32_e32 v7, v1, v2
	v_lshlrev_b64 v[12:13], 2, v[8:9]
	v_add_nc_u32_e32 v8, 0x80, v8
	v_mul_f32_e32 v5, v1, v4
	v_mul_f32_e32 v4, v1, v10
	v_lshrrev_b32_e32 v2, 16, v65
	v_lshrrev_b32_e32 v10, 16, v66
	v_lshlrev_b64 v[8:9], 2, v[8:9]
	v_add_co_u32 v16, vcc_lo, s28, v12
	s_delay_alu instid0(VALU_DEP_4)
	v_cvt_f32_f16_e32 v2, v2
	v_cvt_f32_f16_e32 v12, v65
	;; [unrolled: 1-line block ×4, first 2 shown]
	v_add_co_ci_u32_e32 v17, vcc_lo, s29, v13, vcc_lo
	v_mul_f32_e32 v15, v1, v2
	v_mul_f32_e32 v14, v1, v12
	;; [unrolled: 1-line block ×4, first 2 shown]
	v_add_co_u32 v1, vcc_lo, s28, v8
	v_add_co_ci_u32_e32 v2, vcc_lo, s29, v9, vcc_lo
	s_clause 0x1
	global_store_b128 v[16:17], v[4:7], off
	global_store_b128 v[1:2], v[12:15], off
	s_and_saveexec_b32 s1, s0
	s_cbranch_execz .LBB0_39
; %bb.38:
	v_ashrrev_i32_e32 v1, 31, v0
	v_mov_b32_e32 v10, v3
	s_delay_alu instid0(VALU_DEP_2) | instskip(NEXT) | instid1(VALU_DEP_1)
	v_lshlrev_b64 v[0:1], 3, v[0:1]
	v_add_co_u32 v0, vcc_lo, s30, v0
	s_delay_alu instid0(VALU_DEP_2)
	v_add_co_ci_u32_e32 v1, vcc_lo, s31, v1, vcc_lo
	global_store_b64 v[0:1], v[10:11], off
.LBB0_39:
	s_nop 0
	s_sendmsg sendmsg(MSG_DEALLOC_VGPRS)
	s_endpgm
	.section	.rodata,"a",@progbits
	.p2align	6, 0x0
	.amdhsa_kernel _ZL15flash_attn_tileILi320ELi256ELi1ELi32ELb0EEvPKcS1_S1_S1_S1_PKiPfP15HIP_vector_typeIfLj2EEffffjfiS5_IjLj3EEiiiiiiiiiiiliiliiiiil
		.amdhsa_group_segment_fixed_size 47104
		.amdhsa_private_segment_fixed_size 0
		.amdhsa_kernarg_size 464
		.amdhsa_user_sgpr_count 13
		.amdhsa_user_sgpr_dispatch_ptr 0
		.amdhsa_user_sgpr_queue_ptr 0
		.amdhsa_user_sgpr_kernarg_segment_ptr 1
		.amdhsa_user_sgpr_dispatch_id 0
		.amdhsa_user_sgpr_private_segment_size 0
		.amdhsa_wavefront_size32 1
		.amdhsa_uses_dynamic_stack 0
		.amdhsa_enable_private_segment 0
		.amdhsa_system_sgpr_workgroup_id_x 1
		.amdhsa_system_sgpr_workgroup_id_y 1
		.amdhsa_system_sgpr_workgroup_id_z 1
		.amdhsa_system_sgpr_workgroup_info 0
		.amdhsa_system_vgpr_workitem_id 1
		.amdhsa_next_free_vgpr 129
		.amdhsa_next_free_sgpr 40
		.amdhsa_reserve_vcc 1
		.amdhsa_float_round_mode_32 0
		.amdhsa_float_round_mode_16_64 0
		.amdhsa_float_denorm_mode_32 3
		.amdhsa_float_denorm_mode_16_64 3
		.amdhsa_dx10_clamp 1
		.amdhsa_ieee_mode 1
		.amdhsa_fp16_overflow 0
		.amdhsa_workgroup_processor_mode 1
		.amdhsa_memory_ordered 1
		.amdhsa_forward_progress 0
		.amdhsa_shared_vgpr_count 0
		.amdhsa_exception_fp_ieee_invalid_op 0
		.amdhsa_exception_fp_denorm_src 0
		.amdhsa_exception_fp_ieee_div_zero 0
		.amdhsa_exception_fp_ieee_overflow 0
		.amdhsa_exception_fp_ieee_underflow 0
		.amdhsa_exception_fp_ieee_inexact 0
		.amdhsa_exception_int_div_zero 0
	.end_amdhsa_kernel
	.section	.text._ZL15flash_attn_tileILi320ELi256ELi1ELi32ELb0EEvPKcS1_S1_S1_S1_PKiPfP15HIP_vector_typeIfLj2EEffffjfiS5_IjLj3EEiiiiiiiiiiiliiliiiiil,"axG",@progbits,_ZL15flash_attn_tileILi320ELi256ELi1ELi32ELb0EEvPKcS1_S1_S1_S1_PKiPfP15HIP_vector_typeIfLj2EEffffjfiS5_IjLj3EEiiiiiiiiiiiliiliiiiil,comdat
.Lfunc_end0:
	.size	_ZL15flash_attn_tileILi320ELi256ELi1ELi32ELb0EEvPKcS1_S1_S1_S1_PKiPfP15HIP_vector_typeIfLj2EEffffjfiS5_IjLj3EEiiiiiiiiiiiliiliiiiil, .Lfunc_end0-_ZL15flash_attn_tileILi320ELi256ELi1ELi32ELb0EEvPKcS1_S1_S1_S1_PKiPfP15HIP_vector_typeIfLj2EEffffjfiS5_IjLj3EEiiiiiiiiiiiliiliiiiil
                                        ; -- End function
	.section	.AMDGPU.csdata,"",@progbits
; Kernel info:
; codeLenInByte = 84456
; NumSgprs: 42
; NumVgprs: 129
; ScratchSize: 0
; MemoryBound: 0
; FloatMode: 240
; IeeeMode: 1
; LDSByteSize: 47104 bytes/workgroup (compile time only)
; SGPRBlocks: 5
; VGPRBlocks: 16
; NumSGPRsForWavesPerEU: 42
; NumVGPRsForWavesPerEU: 129
; Occupancy: 4
; WaveLimiterHint : 1
; COMPUTE_PGM_RSRC2:SCRATCH_EN: 0
; COMPUTE_PGM_RSRC2:USER_SGPR: 13
; COMPUTE_PGM_RSRC2:TRAP_HANDLER: 0
; COMPUTE_PGM_RSRC2:TGID_X_EN: 1
; COMPUTE_PGM_RSRC2:TGID_Y_EN: 1
; COMPUTE_PGM_RSRC2:TGID_Z_EN: 1
; COMPUTE_PGM_RSRC2:TIDIG_COMP_CNT: 1
	.section	.text._ZL25flash_attn_mask_to_KV_maxILi1EEvPK7__half2Piiii,"axG",@progbits,_ZL25flash_attn_mask_to_KV_maxILi1EEvPK7__half2Piiii,comdat
	.globl	_ZL25flash_attn_mask_to_KV_maxILi1EEvPK7__half2Piiii ; -- Begin function _ZL25flash_attn_mask_to_KV_maxILi1EEvPK7__half2Piiii
	.p2align	8
	.type	_ZL25flash_attn_mask_to_KV_maxILi1EEvPK7__half2Piiii,@function
_ZL25flash_attn_mask_to_KV_maxILi1EEvPK7__half2Piiii: ; @_ZL25flash_attn_mask_to_KV_maxILi1EEvPK7__half2Piiii
; %bb.0:
	s_load_b128 s[4:7], s[0:1], 0x0
	s_mov_b32 s2, exec_lo
	v_cmpx_gt_u32_e32 32, v0
	s_cbranch_execz .LBB1_2
; %bb.1:
	v_dual_mov_b32 v2, 1 :: v_dual_lshlrev_b32 v1, 2, v0
	ds_store_b32 v1, v2
.LBB1_2:
	s_or_b32 exec_lo, exec_lo, s2
	s_clause 0x1
	s_load_b128 s[8:11], s[0:1], 0x10
	s_load_b32 s1, s[0:1], 0x20
	v_dual_mov_b32 v2, 0 :: v_dual_and_b32 v1, 31, v0
	v_lshrrev_b32_e32 v3, 3, v0
	s_waitcnt lgkmcnt(0)
	s_barrier
	s_delay_alu instid0(VALU_DEP_2) | instskip(SKIP_3) | instid1(SALU_CYCLE_1)
	v_lshlrev_b32_e32 v4, 2, v1
	buffer_gl0_inv
	s_mul_i32 s0, s15, s10
	s_mul_i32 s2, s14, s9
	s_add_i32 s2, s0, s2
	v_cmp_eq_u32_e64 s0, 0, v1
	s_ashr_i32 s3, s2, 31
	s_delay_alu instid0(SALU_CYCLE_1) | instskip(NEXT) | instid1(SALU_CYCLE_1)
	s_lshl_b64 s[10:11], s[2:3], 2
	s_add_u32 s3, s4, s10
	s_addc_u32 s4, s5, s11
	s_lshl_b32 s5, s8, 8
	s_branch .LBB1_4
	.p2align	6
.LBB1_3:                                ;   in Loop: Header=BB1_4 Depth=1
	s_or_b32 exec_lo, exec_lo, s9
	s_waitcnt lgkmcnt(0)
	s_barrier
	buffer_gl0_inv
	ds_load_b32 v1, v4
	s_waitcnt lgkmcnt(0)
	s_barrier
	buffer_gl0_inv
	;;#ASMSTART
	;;#ASMEND
	v_cmp_ne_u32_e32 vcc_lo, 0, v1
	s_cmp_lg_u32 vcc_lo, exec_lo
	s_cselect_b32 s8, -1, 0
	s_delay_alu instid0(SALU_CYCLE_1)
	s_and_b32 vcc_lo, exec_lo, s8
	s_cbranch_vccnz .LBB1_8
.LBB1_4:                                ; =>This Inner Loop Header: Depth=1
	s_mov_b32 s2, s5
	s_addk_i32 s5, 0xff00
	s_delay_alu instid0(SALU_CYCLE_1)
	s_cmp_lt_i32 s5, 0
	s_cbranch_scc1 .LBB1_7
; %bb.5:                                ;   in Loop: Header=BB1_4 Depth=1
	s_lshr_b32 s9, s5, 1
	s_mov_b32 s8, exec_lo
	v_add_nc_u32_e32 v1, s9, v0
	s_delay_alu instid0(VALU_DEP_1) | instskip(NEXT) | instid1(VALU_DEP_1)
	v_lshlrev_b64 v[5:6], 2, v[1:2]
	v_add_co_u32 v5, vcc_lo, s3, v5
	s_delay_alu instid0(VALU_DEP_2) | instskip(SKIP_4) | instid1(VALU_DEP_2)
	v_add_co_ci_u32_e32 v6, vcc_lo, s4, v6, vcc_lo
	global_load_b32 v1, v[5:6], off
	s_waitcnt vmcnt(0)
	v_lshrrev_b32_e32 v5, 16, v1
	v_cmp_class_f16_e64 s9, v1, 0x204
	v_and_b32_e32 v5, 0x7fff, v5
	s_delay_alu instid0(VALU_DEP_1) | instskip(NEXT) | instid1(VALU_DEP_3)
	v_cmp_eq_f16_e32 vcc_lo, 0x7c00, v5
	s_and_b32 s9, s9, vcc_lo
	s_delay_alu instid0(SALU_CYCLE_1) | instskip(SKIP_1) | instid1(VALU_DEP_1)
	v_cndmask_b32_e64 v1, 0, 1, s9
	;;#ASMSTART
	;;#ASMEND
	v_cmp_ne_u32_e32 vcc_lo, 0, v1
	s_and_saveexec_b32 s9, s0
	s_cbranch_execz .LBB1_3
; %bb.6:                                ;   in Loop: Header=BB1_4 Depth=1
	s_cmp_eq_u32 vcc_lo, s8
	s_cselect_b32 s8, -1, 0
	s_delay_alu instid0(SALU_CYCLE_1)
	v_cndmask_b32_e64 v1, 0, 1, s8
	ds_store_b32 v3, v1
	s_branch .LBB1_3
.LBB1_7:                                ;   in Loop: Header=BB1_4 Depth=1
                                        ; implicit-def: $sgpr5
	s_cbranch_execz .LBB1_4
.LBB1_8:
	s_mov_b32 s0, exec_lo
	v_cmpx_eq_u32_e32 0, v0
	s_cbranch_execz .LBB1_10
; %bb.9:
	s_mul_i32 s0, s1, s15
	v_dual_mov_b32 v0, 0 :: v_dual_mov_b32 v1, s2
	s_add_i32 s0, s0, s14
	s_delay_alu instid0(SALU_CYCLE_1) | instskip(NEXT) | instid1(SALU_CYCLE_1)
	s_ashr_i32 s1, s0, 31
	s_lshl_b64 s[0:1], s[0:1], 2
	s_delay_alu instid0(SALU_CYCLE_1)
	s_add_u32 s0, s6, s0
	s_addc_u32 s1, s7, s1
	global_store_b32 v0, v1, s[0:1]
.LBB1_10:
	s_nop 0
	s_sendmsg sendmsg(MSG_DEALLOC_VGPRS)
	s_endpgm
	.section	.rodata,"a",@progbits
	.p2align	6, 0x0
	.amdhsa_kernel _ZL25flash_attn_mask_to_KV_maxILi1EEvPK7__half2Piiii
		.amdhsa_group_segment_fixed_size 128
		.amdhsa_private_segment_fixed_size 0
		.amdhsa_kernarg_size 288
		.amdhsa_user_sgpr_count 14
		.amdhsa_user_sgpr_dispatch_ptr 0
		.amdhsa_user_sgpr_queue_ptr 0
		.amdhsa_user_sgpr_kernarg_segment_ptr 1
		.amdhsa_user_sgpr_dispatch_id 0
		.amdhsa_user_sgpr_private_segment_size 0
		.amdhsa_wavefront_size32 1
		.amdhsa_uses_dynamic_stack 0
		.amdhsa_enable_private_segment 0
		.amdhsa_system_sgpr_workgroup_id_x 1
		.amdhsa_system_sgpr_workgroup_id_y 1
		.amdhsa_system_sgpr_workgroup_id_z 0
		.amdhsa_system_sgpr_workgroup_info 0
		.amdhsa_system_vgpr_workitem_id 0
		.amdhsa_next_free_vgpr 7
		.amdhsa_next_free_sgpr 16
		.amdhsa_reserve_vcc 1
		.amdhsa_float_round_mode_32 0
		.amdhsa_float_round_mode_16_64 0
		.amdhsa_float_denorm_mode_32 3
		.amdhsa_float_denorm_mode_16_64 3
		.amdhsa_dx10_clamp 1
		.amdhsa_ieee_mode 1
		.amdhsa_fp16_overflow 0
		.amdhsa_workgroup_processor_mode 1
		.amdhsa_memory_ordered 1
		.amdhsa_forward_progress 0
		.amdhsa_shared_vgpr_count 0
		.amdhsa_exception_fp_ieee_invalid_op 0
		.amdhsa_exception_fp_denorm_src 0
		.amdhsa_exception_fp_ieee_div_zero 0
		.amdhsa_exception_fp_ieee_overflow 0
		.amdhsa_exception_fp_ieee_underflow 0
		.amdhsa_exception_fp_ieee_inexact 0
		.amdhsa_exception_int_div_zero 0
	.end_amdhsa_kernel
	.section	.text._ZL25flash_attn_mask_to_KV_maxILi1EEvPK7__half2Piiii,"axG",@progbits,_ZL25flash_attn_mask_to_KV_maxILi1EEvPK7__half2Piiii,comdat
.Lfunc_end1:
	.size	_ZL25flash_attn_mask_to_KV_maxILi1EEvPK7__half2Piiii, .Lfunc_end1-_ZL25flash_attn_mask_to_KV_maxILi1EEvPK7__half2Piiii
                                        ; -- End function
	.section	.AMDGPU.csdata,"",@progbits
; Kernel info:
; codeLenInByte = 456
; NumSgprs: 18
; NumVgprs: 7
; ScratchSize: 0
; MemoryBound: 0
; FloatMode: 240
; IeeeMode: 1
; LDSByteSize: 128 bytes/workgroup (compile time only)
; SGPRBlocks: 2
; VGPRBlocks: 0
; NumSGPRsForWavesPerEU: 18
; NumVGPRsForWavesPerEU: 7
; Occupancy: 16
; WaveLimiterHint : 0
; COMPUTE_PGM_RSRC2:SCRATCH_EN: 0
; COMPUTE_PGM_RSRC2:USER_SGPR: 14
; COMPUTE_PGM_RSRC2:TRAP_HANDLER: 0
; COMPUTE_PGM_RSRC2:TGID_X_EN: 1
; COMPUTE_PGM_RSRC2:TGID_Y_EN: 1
; COMPUTE_PGM_RSRC2:TGID_Z_EN: 0
; COMPUTE_PGM_RSRC2:TIDIG_COMP_CNT: 0
	.section	.text._ZL33flash_attn_stream_k_fixup_uniformILi256ELi1ELi32EEvPfPK15HIP_vector_typeIfLj2EEiiiiiiS1_IjLj3EES5_S5_,"axG",@progbits,_ZL33flash_attn_stream_k_fixup_uniformILi256ELi1ELi32EEvPfPK15HIP_vector_typeIfLj2EEiiiiiiS1_IjLj3EES5_S5_,comdat
	.globl	_ZL33flash_attn_stream_k_fixup_uniformILi256ELi1ELi32EEvPfPK15HIP_vector_typeIfLj2EEiiiiiiS1_IjLj3EES5_S5_ ; -- Begin function _ZL33flash_attn_stream_k_fixup_uniformILi256ELi1ELi32EEvPfPK15HIP_vector_typeIfLj2EEiiiiiiS1_IjLj3EES5_S5_
	.p2align	8
	.type	_ZL33flash_attn_stream_k_fixup_uniformILi256ELi1ELi32EEvPfPK15HIP_vector_typeIfLj2EEiiiiiiS1_IjLj3EES5_S5_,@function
_ZL33flash_attn_stream_k_fixup_uniformILi256ELi1ELi32EEvPfPK15HIP_vector_typeIfLj2EEiiiiiiS1_IjLj3EES5_S5_: ; @_ZL33flash_attn_stream_k_fixup_uniformILi256ELi1ELi32EEvPfPK15HIP_vector_typeIfLj2EEiiiiiiS1_IjLj3EES5_S5_
; %bb.0:
	s_clause 0x1
	s_load_b256 s[4:11], s[0:1], 0x1c
	s_load_b128 s[16:19], s[0:1], 0x3c
	s_waitcnt lgkmcnt(0)
	s_mul_hi_u32 s2, s7, s13
	s_delay_alu instid0(SALU_CYCLE_1) | instskip(NEXT) | instid1(SALU_CYCLE_1)
	s_add_i32 s2, s13, s2
	s_lshr_b32 s7, s2, s8
	s_delay_alu instid0(SALU_CYCLE_1) | instskip(SKIP_2) | instid1(SALU_CYCLE_1)
	s_mul_i32 s2, s7, s9
	s_load_b64 s[8:9], s[0:1], 0x10
	s_sub_i32 s2, s13, s2
	s_mul_hi_u32 s3, s2, s10
	s_delay_alu instid0(SALU_CYCLE_1) | instskip(NEXT) | instid1(SALU_CYCLE_1)
	s_add_i32 s3, s2, s3
	s_lshr_b32 s10, s3, s11
	s_delay_alu instid0(SALU_CYCLE_1) | instskip(NEXT) | instid1(SALU_CYCLE_1)
	s_mul_i32 s3, s10, s16
	s_sub_i32 s2, s2, s3
	s_delay_alu instid0(SALU_CYCLE_1) | instskip(NEXT) | instid1(SALU_CYCLE_1)
	s_mul_hi_u32 s3, s2, s17
	s_add_i32 s3, s2, s3
	s_delay_alu instid0(SALU_CYCLE_1) | instskip(NEXT) | instid1(SALU_CYCLE_1)
	s_lshr_b32 s3, s3, s18
	s_mul_i32 s11, s3, s19
	s_lshl_b32 s12, s3, 5
	s_sub_i32 s11, s2, s11
	s_delay_alu instid0(SALU_CYCLE_1) | instskip(SKIP_4) | instid1(SALU_CYCLE_1)
	s_add_i32 s11, s11, s14
	s_waitcnt lgkmcnt(0)
	s_cmp_lt_i32 s11, s8
	s_cselect_b32 s2, -1, 0
	s_add_i32 s12, s12, s15
	s_cmp_lt_i32 s12, s5
	s_cselect_b32 s3, -1, 0
	s_delay_alu instid0(SALU_CYCLE_1) | instskip(NEXT) | instid1(SALU_CYCLE_1)
	s_and_b32 s2, s2, s3
	s_and_not1_b32 vcc_lo, exec_lo, s2
	s_cbranch_vccnz .LBB2_6
; %bb.1:
	s_mul_i32 s7, s7, s8
	s_mul_i32 s10, s10, s5
	s_add_i32 s5, s11, s7
	s_load_b128 s[0:3], s[0:1], 0x0
	s_add_i32 s7, s12, s10
	s_mul_i32 s5, s5, s9
	s_delay_alu instid0(SALU_CYCLE_1) | instskip(SKIP_3) | instid1(VALU_DEP_1)
	s_add_i32 s7, s7, s5
	s_mul_i32 s5, s13, s6
	v_lshl_or_b32 v1, s7, 8, v0
	s_add_i32 s9, s5, s6
	v_ashrrev_i32_e32 v2, 31, v1
	s_delay_alu instid0(VALU_DEP_1) | instskip(SKIP_1) | instid1(VALU_DEP_1)
	v_lshlrev_b64 v[1:2], 2, v[1:2]
	s_waitcnt lgkmcnt(0)
	v_add_co_u32 v1, vcc_lo, s0, v1
	s_delay_alu instid0(VALU_DEP_2) | instskip(SKIP_1) | instid1(SALU_CYCLE_1)
	v_add_co_ci_u32_e32 v2, vcc_lo, s1, v2, vcc_lo
	s_add_i32 s0, s14, s9
	s_lshl_b32 s0, s0, 5
	global_load_b32 v5, v[1:2], off
	s_add_i32 s0, s0, s15
	s_delay_alu instid0(SALU_CYCLE_1) | instskip(NEXT) | instid1(SALU_CYCLE_1)
	s_sub_i32 s0, s0, 32
	s_ashr_i32 s1, s0, 31
	s_delay_alu instid0(SALU_CYCLE_1) | instskip(NEXT) | instid1(SALU_CYCLE_1)
	s_lshl_b64 s[0:1], s[0:1], 3
	s_add_u32 s0, s2, s0
	s_addc_u32 s1, s3, s1
	s_add_i32 s7, s9, -2
	s_load_b32 s10, s[0:1], 0x4
	s_cmp_lt_i32 s7, s5
	s_cbranch_scc1 .LBB2_4
; %bb.2:
	s_lshl_b32 s16, s4, 7
	s_load_b32 s11, s[0:1], 0x0
	s_ashr_i32 s17, s16, 31
	s_delay_alu instid0(SALU_CYCLE_1) | instskip(NEXT) | instid1(SALU_CYCLE_1)
	s_lshl_b64 s[0:1], s[16:17], 2
	s_add_u32 s7, s2, s0
	s_addc_u32 s8, s3, s1
	s_add_i32 s13, s13, 1
	s_lshl_b32 s0, s15, 8
	s_lshl_b32 s1, s14, 13
	s_mul_i32 s6, s6, s13
	s_add_i32 s0, s0, s1
	s_lshl_b32 s1, s6, 13
	s_delay_alu instid0(SALU_CYCLE_1)
	s_add_i32 s0, s0, s1
	s_add_i32 s1, s14, s4
	v_or_b32_e32 v0, s0, v0
	s_add_i32 s1, s1, s9
	s_waitcnt lgkmcnt(0)
	v_mov_b32_e32 v6, s10
	s_lshl_b32 s0, s1, 5
	s_add_i32 s4, s9, -1
	v_dual_mov_b32 v0, s11 :: v_dual_add_nc_u32 v3, 0xffffc000, v0
	s_add_i32 s15, s15, s0
	s_delay_alu instid0(SALU_CYCLE_1)
	s_sub_i32 s0, s15, 64
.LBB2_3:                                ; =>This Inner Loop Header: Depth=1
	s_delay_alu instid0(VALU_DEP_1) | instskip(SKIP_1) | instid1(SALU_CYCLE_1)
	v_ashrrev_i32_e32 v4, 31, v3
	s_ashr_i32 s1, s0, 31
	s_lshl_b64 s[10:11], s[0:1], 3
	s_delay_alu instid0(SALU_CYCLE_1) | instskip(NEXT) | instid1(VALU_DEP_1)
	s_add_u32 s10, s2, s10
	v_lshlrev_b64 v[7:8], 2, v[3:4]
	s_addc_u32 s11, s3, s11
	s_add_i32 s4, s4, -1
	s_sub_i32 s0, s0, 32
	s_cmp_le_i32 s4, s5
	s_load_b64 s[10:11], s[10:11], 0x0
	v_add_co_u32 v7, vcc_lo, s7, v7
	v_add_co_ci_u32_e32 v8, vcc_lo, s8, v8, vcc_lo
	global_load_b32 v4, v[7:8], off
	v_max_f32_e32 v7, v0, v0
	s_waitcnt lgkmcnt(0)
	v_max_f32_e64 v8, s10, s10
	s_delay_alu instid0(VALU_DEP_1) | instskip(NEXT) | instid1(VALU_DEP_1)
	v_max_f32_e32 v7, v7, v8
	v_sub_f32_e32 v8, s10, v7
	s_delay_alu instid0(VALU_DEP_1) | instskip(NEXT) | instid1(VALU_DEP_1)
	v_dual_sub_f32 v0, v0, v7 :: v_dual_mul_f32 v9, 0x3fb8aa3b, v8
	v_fma_f32 v10, 0x3fb8aa3b, v8, -v9
	v_rndne_f32_e32 v11, v9
	s_delay_alu instid0(VALU_DEP_3) | instskip(NEXT) | instid1(VALU_DEP_2)
	v_mul_f32_e32 v12, 0x3fb8aa3b, v0
	v_dual_fmac_f32 v10, 0x32a5705f, v8 :: v_dual_sub_f32 v9, v9, v11
	v_cvt_i32_f32_e32 v11, v11
	s_delay_alu instid0(VALU_DEP_3) | instskip(SKIP_1) | instid1(VALU_DEP_4)
	v_fma_f32 v13, 0x3fb8aa3b, v0, -v12
	v_rndne_f32_e32 v14, v12
	v_add_f32_e32 v9, v9, v10
	v_cmp_ngt_f32_e32 vcc_lo, 0xc2ce8ed0, v8
	s_delay_alu instid0(VALU_DEP_3) | instskip(NEXT) | instid1(VALU_DEP_3)
	v_sub_f32_e32 v10, v12, v14
	v_exp_f32_e32 v9, v9
	s_waitcnt_depctr 0xfff
	v_ldexp_f32 v9, v9, v11
	v_cvt_i32_f32_e32 v11, v14
	s_delay_alu instid0(VALU_DEP_2) | instskip(SKIP_1) | instid1(VALU_DEP_2)
	v_cndmask_b32_e32 v9, 0, v9, vcc_lo
	v_cmp_nlt_f32_e32 vcc_lo, 0x42b17218, v8
	v_cndmask_b32_e32 v9, 0x7f800000, v9, vcc_lo
	v_cmp_ngt_f32_e32 vcc_lo, 0xc2ce8ed0, v0
	v_fmac_f32_e32 v13, 0x32a5705f, v0
	s_delay_alu instid0(VALU_DEP_1) | instskip(NEXT) | instid1(VALU_DEP_1)
	v_add_f32_e32 v10, v10, v13
	v_exp_f32_e32 v10, v10
	s_waitcnt_depctr 0xfff
	v_ldexp_f32 v10, v10, v11
	s_delay_alu instid0(VALU_DEP_1)
	v_dual_mov_b32 v11, v6 :: v_dual_cndmask_b32 v10, 0, v10
	v_cmp_le_f32_e32 vcc_lo, 0xc1a00000, v8
	s_waitcnt vmcnt(1)
	v_dual_cndmask_b32 v8, 0, v9 :: v_dual_mov_b32 v9, v5
	v_cmp_nlt_f32_e32 vcc_lo, 0x42b17218, v0
	v_cndmask_b32_e32 v5, 0x7f800000, v10, vcc_lo
	s_delay_alu instid0(VALU_DEP_3) | instskip(SKIP_2) | instid1(VALU_DEP_3)
	v_mul_f32_e32 v10, s11, v8
	v_cmp_le_f32_e32 vcc_lo, 0xc1a00000, v0
	v_mov_b32_e32 v0, v7
	v_mov_b32_e32 v6, v10
	s_waitcnt vmcnt(0)
	v_dual_cndmask_b32 v12, 0, v5 :: v_dual_mul_f32 v5, v4, v8
	s_delay_alu instid0(VALU_DEP_1) | instskip(NEXT) | instid1(VALU_DEP_2)
	v_dual_fmac_f32 v6, v11, v12 :: v_dual_add_nc_u32 v3, 0xffffe000, v3
	v_fmac_f32_e32 v5, v9, v12
	s_cbranch_scc0 .LBB2_3
	s_branch .LBB2_5
.LBB2_4:
	s_waitcnt lgkmcnt(0)
	v_mov_b32_e32 v6, s10
.LBB2_5:
	s_waitcnt vmcnt(0)
	s_delay_alu instid0(VALU_DEP_1) | instskip(NEXT) | instid1(VALU_DEP_1)
	v_div_scale_f32 v0, null, v6, v6, v5
	v_rcp_f32_e32 v3, v0
	s_waitcnt_depctr 0xfff
	v_fma_f32 v4, -v0, v3, 1.0
	s_delay_alu instid0(VALU_DEP_1) | instskip(SKIP_1) | instid1(VALU_DEP_1)
	v_fmac_f32_e32 v3, v4, v3
	v_div_scale_f32 v4, vcc_lo, v5, v6, v5
	v_mul_f32_e32 v7, v4, v3
	s_delay_alu instid0(VALU_DEP_1) | instskip(NEXT) | instid1(VALU_DEP_1)
	v_fma_f32 v8, -v0, v7, v4
	v_fmac_f32_e32 v7, v8, v3
	s_delay_alu instid0(VALU_DEP_1) | instskip(NEXT) | instid1(VALU_DEP_1)
	v_fma_f32 v0, -v0, v7, v4
	v_div_fmas_f32 v0, v0, v3, v7
	s_delay_alu instid0(VALU_DEP_1)
	v_div_fixup_f32 v0, v0, v6, v5
	global_store_b32 v[1:2], v0, off
.LBB2_6:
	s_nop 0
	s_sendmsg sendmsg(MSG_DEALLOC_VGPRS)
	s_endpgm
	.section	.rodata,"a",@progbits
	.p2align	6, 0x0
	.amdhsa_kernel _ZL33flash_attn_stream_k_fixup_uniformILi256ELi1ELi32EEvPfPK15HIP_vector_typeIfLj2EEiiiiiiS1_IjLj3EES5_S5_
		.amdhsa_group_segment_fixed_size 0
		.amdhsa_private_segment_fixed_size 0
		.amdhsa_kernarg_size 76
		.amdhsa_user_sgpr_count 13
		.amdhsa_user_sgpr_dispatch_ptr 0
		.amdhsa_user_sgpr_queue_ptr 0
		.amdhsa_user_sgpr_kernarg_segment_ptr 1
		.amdhsa_user_sgpr_dispatch_id 0
		.amdhsa_user_sgpr_private_segment_size 0
		.amdhsa_wavefront_size32 1
		.amdhsa_uses_dynamic_stack 0
		.amdhsa_enable_private_segment 0
		.amdhsa_system_sgpr_workgroup_id_x 1
		.amdhsa_system_sgpr_workgroup_id_y 1
		.amdhsa_system_sgpr_workgroup_id_z 1
		.amdhsa_system_sgpr_workgroup_info 0
		.amdhsa_system_vgpr_workitem_id 0
		.amdhsa_next_free_vgpr 15
		.amdhsa_next_free_sgpr 20
		.amdhsa_reserve_vcc 1
		.amdhsa_float_round_mode_32 0
		.amdhsa_float_round_mode_16_64 0
		.amdhsa_float_denorm_mode_32 3
		.amdhsa_float_denorm_mode_16_64 3
		.amdhsa_dx10_clamp 1
		.amdhsa_ieee_mode 1
		.amdhsa_fp16_overflow 0
		.amdhsa_workgroup_processor_mode 1
		.amdhsa_memory_ordered 1
		.amdhsa_forward_progress 0
		.amdhsa_shared_vgpr_count 0
		.amdhsa_exception_fp_ieee_invalid_op 0
		.amdhsa_exception_fp_denorm_src 0
		.amdhsa_exception_fp_ieee_div_zero 0
		.amdhsa_exception_fp_ieee_overflow 0
		.amdhsa_exception_fp_ieee_underflow 0
		.amdhsa_exception_fp_ieee_inexact 0
		.amdhsa_exception_int_div_zero 0
	.end_amdhsa_kernel
	.section	.text._ZL33flash_attn_stream_k_fixup_uniformILi256ELi1ELi32EEvPfPK15HIP_vector_typeIfLj2EEiiiiiiS1_IjLj3EES5_S5_,"axG",@progbits,_ZL33flash_attn_stream_k_fixup_uniformILi256ELi1ELi32EEvPfPK15HIP_vector_typeIfLj2EEiiiiiiS1_IjLj3EES5_S5_,comdat
.Lfunc_end2:
	.size	_ZL33flash_attn_stream_k_fixup_uniformILi256ELi1ELi32EEvPfPK15HIP_vector_typeIfLj2EEiiiiiiS1_IjLj3EES5_S5_, .Lfunc_end2-_ZL33flash_attn_stream_k_fixup_uniformILi256ELi1ELi32EEvPfPK15HIP_vector_typeIfLj2EEiiiiiiS1_IjLj3EES5_S5_
                                        ; -- End function
	.section	.AMDGPU.csdata,"",@progbits
; Kernel info:
; codeLenInByte = 968
; NumSgprs: 22
; NumVgprs: 15
; ScratchSize: 0
; MemoryBound: 0
; FloatMode: 240
; IeeeMode: 1
; LDSByteSize: 0 bytes/workgroup (compile time only)
; SGPRBlocks: 2
; VGPRBlocks: 1
; NumSGPRsForWavesPerEU: 22
; NumVGPRsForWavesPerEU: 15
; Occupancy: 16
; WaveLimiterHint : 0
; COMPUTE_PGM_RSRC2:SCRATCH_EN: 0
; COMPUTE_PGM_RSRC2:USER_SGPR: 13
; COMPUTE_PGM_RSRC2:TRAP_HANDLER: 0
; COMPUTE_PGM_RSRC2:TGID_X_EN: 1
; COMPUTE_PGM_RSRC2:TGID_Y_EN: 1
; COMPUTE_PGM_RSRC2:TGID_Z_EN: 1
; COMPUTE_PGM_RSRC2:TIDIG_COMP_CNT: 0
	.section	.text._ZL33flash_attn_stream_k_fixup_generalILi256ELi1ELi32EEvPfPK15HIP_vector_typeIfLj2EEiiiiS1_IjLj3EES5_S5_S5_,"axG",@progbits,_ZL33flash_attn_stream_k_fixup_generalILi256ELi1ELi32EEvPfPK15HIP_vector_typeIfLj2EEiiiiS1_IjLj3EES5_S5_S5_,comdat
	.globl	_ZL33flash_attn_stream_k_fixup_generalILi256ELi1ELi32EEvPfPK15HIP_vector_typeIfLj2EEiiiiS1_IjLj3EES5_S5_S5_ ; -- Begin function _ZL33flash_attn_stream_k_fixup_generalILi256ELi1ELi32EEvPfPK15HIP_vector_typeIfLj2EEiiiiS1_IjLj3EES5_S5_S5_
	.p2align	8
	.type	_ZL33flash_attn_stream_k_fixup_generalILi256ELi1ELi32EEvPfPK15HIP_vector_typeIfLj2EEiiiiS1_IjLj3EES5_S5_S5_,@function
_ZL33flash_attn_stream_k_fixup_generalILi256ELi1ELi32EEvPfPK15HIP_vector_typeIfLj2EEiiiiS1_IjLj3EES5_S5_S5_: ; @_ZL33flash_attn_stream_k_fixup_generalILi256ELi1ELi32EEvPfPK15HIP_vector_typeIfLj2EEiiiiS1_IjLj3EES5_S5_S5_
; %bb.0:
	s_clause 0x1
	s_load_b128 s[4:7], s[0:1], 0x10
	s_load_b32 s20, s[0:1], 0x50
	s_mov_b32 s2, 0
	s_waitcnt lgkmcnt(0)
	s_mul_hi_i32 s3, s7, s13
	s_mul_i32 s12, s7, s13
	s_cmp_lg_u64 s[2:3], 0
	s_cbranch_scc0 .LBB3_21
; %bb.1:
	v_cvt_f32_ubyte0_e32 v1, 0
	v_cvt_f32_u32_e32 v2, s20
	s_sub_u32 s10, 0, s20
	s_subb_u32 s11, 0, 0
	s_delay_alu instid0(VALU_DEP_1) | instskip(NEXT) | instid1(VALU_DEP_1)
	v_fmamk_f32 v1, v1, 0x4f800000, v2
	v_rcp_f32_e32 v1, v1
	s_waitcnt_depctr 0xfff
	v_mul_f32_e32 v1, 0x5f7ffffc, v1
	s_delay_alu instid0(VALU_DEP_1) | instskip(NEXT) | instid1(VALU_DEP_1)
	v_mul_f32_e32 v2, 0x2f800000, v1
	v_trunc_f32_e32 v2, v2
	s_delay_alu instid0(VALU_DEP_1) | instskip(SKIP_1) | instid1(VALU_DEP_2)
	v_fmamk_f32 v1, v2, 0xcf800000, v1
	v_cvt_u32_f32_e32 v2, v2
	v_cvt_u32_f32_e32 v1, v1
	s_delay_alu instid0(VALU_DEP_2) | instskip(NEXT) | instid1(VALU_DEP_2)
	v_readfirstlane_b32 s8, v2
	v_readfirstlane_b32 s9, v1
	s_delay_alu instid0(VALU_DEP_2) | instskip(NEXT) | instid1(VALU_DEP_1)
	s_mul_i32 s16, s10, s8
	s_mul_hi_u32 s18, s10, s9
	s_mul_i32 s17, s11, s9
	s_add_i32 s16, s18, s16
	s_mul_i32 s19, s10, s9
	s_add_i32 s16, s16, s17
	s_mul_hi_u32 s18, s9, s19
	s_mul_hi_u32 s21, s8, s19
	s_mul_i32 s17, s8, s19
	s_mul_hi_u32 s19, s9, s16
	s_mul_i32 s9, s9, s16
	s_mul_hi_u32 s22, s8, s16
	s_add_u32 s9, s18, s9
	s_addc_u32 s18, 0, s19
	s_add_u32 s9, s9, s17
	s_mul_i32 s16, s8, s16
	s_addc_u32 s9, s18, s21
	s_addc_u32 s17, s22, 0
	s_add_u32 s9, s9, s16
	s_addc_u32 s16, 0, s17
	v_add_co_u32 v1, s9, v1, s9
	s_delay_alu instid0(VALU_DEP_1) | instskip(SKIP_1) | instid1(VALU_DEP_1)
	s_cmp_lg_u32 s9, 0
	s_addc_u32 s8, s8, s16
	v_readfirstlane_b32 s9, v1
	s_mul_i32 s16, s10, s8
	s_delay_alu instid0(VALU_DEP_1)
	s_mul_hi_u32 s17, s10, s9
	s_mul_i32 s11, s11, s9
	s_add_i32 s16, s17, s16
	s_mul_i32 s10, s10, s9
	s_add_i32 s16, s16, s11
	s_mul_hi_u32 s17, s8, s10
	s_mul_i32 s18, s8, s10
	s_mul_hi_u32 s10, s9, s10
	s_mul_hi_u32 s19, s9, s16
	s_mul_i32 s9, s9, s16
	s_mul_hi_u32 s11, s8, s16
	s_add_u32 s9, s10, s9
	s_addc_u32 s10, 0, s19
	s_add_u32 s9, s9, s18
	s_mul_i32 s16, s8, s16
	s_addc_u32 s9, s10, s17
	s_addc_u32 s10, s11, 0
	s_add_u32 s9, s9, s16
	s_addc_u32 s10, 0, s10
	v_add_co_u32 v1, s9, v1, s9
	s_delay_alu instid0(VALU_DEP_1) | instskip(SKIP_2) | instid1(SALU_CYCLE_1)
	s_cmp_lg_u32 s9, 0
	s_addc_u32 s16, s8, s10
	s_ashr_i32 s8, s3, 31
	s_add_u32 s10, s12, s8
	s_addc_u32 s11, s3, s8
	v_readfirstlane_b32 s3, v1
	s_mov_b32 s9, s8
	s_delay_alu instid0(SALU_CYCLE_1) | instskip(NEXT) | instid1(SALU_CYCLE_1)
	s_xor_b64 s[10:11], s[10:11], s[8:9]
	s_mul_i32 s18, s10, s16
	s_delay_alu instid0(VALU_DEP_1)
	s_mul_hi_u32 s19, s10, s3
	s_mul_hi_u32 s17, s10, s16
	;; [unrolled: 1-line block ×3, first 2 shown]
	s_mul_i32 s3, s11, s3
	s_add_u32 s18, s19, s18
	s_addc_u32 s17, 0, s17
	s_mul_hi_u32 s21, s11, s16
	s_add_u32 s3, s18, s3
	s_mul_i32 s16, s11, s16
	s_addc_u32 s3, s17, s22
	s_addc_u32 s17, s21, 0
	s_add_u32 s3, s3, s16
	s_addc_u32 s16, 0, s17
	s_mul_i32 s18, s20, s3
	s_add_u32 s17, s3, 1
	v_sub_co_u32 v1, s10, s10, s18
	s_mul_hi_u32 s18, s20, s3
	s_addc_u32 s19, s16, 0
	s_mul_i32 s21, s20, s16
	s_delay_alu instid0(VALU_DEP_1)
	v_sub_co_u32 v2, s22, v1, s20
	s_add_u32 s23, s3, 2
	s_addc_u32 s24, s16, 0
	s_add_i32 s18, s18, s21
	s_cmp_lg_u32 s10, 0
	v_readfirstlane_b32 s10, v2
	s_subb_u32 s11, s11, s18
	s_cmp_lg_u32 s22, 0
	s_subb_u32 s18, s11, 0
	s_delay_alu instid0(VALU_DEP_1) | instskip(SKIP_4) | instid1(SALU_CYCLE_1)
	s_cmp_ge_u32 s10, s20
	s_cselect_b32 s10, -1, 0
	s_cmp_eq_u32 s18, 0
	v_readfirstlane_b32 s18, v1
	s_cselect_b32 s10, s10, -1
	s_cmp_lg_u32 s10, 0
	s_cselect_b32 s10, s23, s17
	s_cselect_b32 s17, s24, s19
	s_cmp_ge_u32 s18, s20
	s_cselect_b32 s18, -1, 0
	s_cmp_eq_u32 s11, 0
	s_cselect_b32 s11, s18, -1
	s_delay_alu instid0(SALU_CYCLE_1) | instskip(SKIP_2) | instid1(SALU_CYCLE_1)
	s_cmp_lg_u32 s11, 0
	s_cselect_b32 s11, s17, s16
	s_cselect_b32 s10, s10, s3
	s_xor_b64 s[10:11], s[10:11], s[8:9]
	s_delay_alu instid0(SALU_CYCLE_1)
	s_sub_u32 s16, s10, s8
	s_load_b128 s[8:11], s[0:1], 0x44
	s_and_not1_b32 vcc_lo, exec_lo, s2
	s_cbranch_vccnz .LBB3_3
.LBB3_2:
	v_cvt_f32_u32_e32 v1, s20
	s_sub_i32 s3, 0, s20
	s_delay_alu instid0(VALU_DEP_1) | instskip(SKIP_2) | instid1(VALU_DEP_1)
	v_rcp_iflag_f32_e32 v1, v1
	s_waitcnt_depctr 0xfff
	v_mul_f32_e32 v1, 0x4f7ffffe, v1
	v_cvt_u32_f32_e32 v1, v1
	s_delay_alu instid0(VALU_DEP_1) | instskip(NEXT) | instid1(VALU_DEP_1)
	v_readfirstlane_b32 s2, v1
	s_mul_i32 s3, s3, s2
	s_delay_alu instid0(SALU_CYCLE_1) | instskip(NEXT) | instid1(SALU_CYCLE_1)
	s_mul_hi_u32 s3, s2, s3
	s_add_i32 s2, s2, s3
	s_delay_alu instid0(SALU_CYCLE_1) | instskip(NEXT) | instid1(SALU_CYCLE_1)
	s_mul_hi_u32 s2, s12, s2
	s_mul_i32 s3, s2, s20
	s_waitcnt lgkmcnt(0)
	s_add_i32 s11, s2, 1
	s_sub_i32 s3, s12, s3
	s_delay_alu instid0(SALU_CYCLE_1)
	s_sub_i32 s12, s3, s20
	s_cmp_ge_u32 s3, s20
	s_cselect_b32 s2, s11, s2
	s_cselect_b32 s3, s12, s3
	s_add_i32 s11, s2, 1
	s_cmp_ge_u32 s3, s20
	s_cselect_b32 s16, s11, s2
.LBB3_3:
	s_waitcnt lgkmcnt(0)
	s_add_i32 s11, s13, 1
	s_mov_b32 s2, 0
	s_mul_hi_i32 s3, s7, s11
	s_mul_i32 s11, s7, s11
	s_cmp_lg_u64 s[2:3], 0
	s_cbranch_scc0 .LBB3_22
; %bb.4:
	v_cvt_f32_ubyte0_e32 v1, 0
	v_cvt_f32_u32_e32 v2, s20
	s_sub_u32 s18, 0, s20
	s_subb_u32 s19, 0, 0
	s_delay_alu instid0(VALU_DEP_1) | instskip(NEXT) | instid1(VALU_DEP_1)
	v_fmamk_f32 v1, v1, 0x4f800000, v2
	v_rcp_f32_e32 v1, v1
	s_waitcnt_depctr 0xfff
	v_mul_f32_e32 v1, 0x5f7ffffc, v1
	s_delay_alu instid0(VALU_DEP_1) | instskip(NEXT) | instid1(VALU_DEP_1)
	v_mul_f32_e32 v2, 0x2f800000, v1
	v_trunc_f32_e32 v2, v2
	s_delay_alu instid0(VALU_DEP_1) | instskip(SKIP_1) | instid1(VALU_DEP_2)
	v_fmamk_f32 v1, v2, 0xcf800000, v1
	v_cvt_u32_f32_e32 v2, v2
	v_cvt_u32_f32_e32 v1, v1
	s_delay_alu instid0(VALU_DEP_2) | instskip(NEXT) | instid1(VALU_DEP_2)
	v_readfirstlane_b32 s12, v2
	v_readfirstlane_b32 s17, v1
	s_delay_alu instid0(VALU_DEP_2) | instskip(NEXT) | instid1(VALU_DEP_1)
	s_mul_i32 s21, s18, s12
	s_mul_hi_u32 s23, s18, s17
	s_mul_i32 s22, s19, s17
	s_add_i32 s21, s23, s21
	s_mul_i32 s24, s18, s17
	s_add_i32 s21, s21, s22
	s_mul_hi_u32 s23, s17, s24
	s_mul_hi_u32 s25, s12, s24
	s_mul_i32 s22, s12, s24
	s_mul_hi_u32 s24, s17, s21
	s_mul_i32 s17, s17, s21
	s_mul_hi_u32 s26, s12, s21
	s_add_u32 s17, s23, s17
	s_addc_u32 s23, 0, s24
	s_add_u32 s17, s17, s22
	s_mul_i32 s21, s12, s21
	s_addc_u32 s17, s23, s25
	s_addc_u32 s22, s26, 0
	s_add_u32 s17, s17, s21
	s_addc_u32 s21, 0, s22
	v_add_co_u32 v1, s17, v1, s17
	s_delay_alu instid0(VALU_DEP_1) | instskip(SKIP_1) | instid1(VALU_DEP_1)
	s_cmp_lg_u32 s17, 0
	s_addc_u32 s12, s12, s21
	v_readfirstlane_b32 s17, v1
	s_mul_i32 s21, s18, s12
	s_delay_alu instid0(VALU_DEP_1)
	s_mul_hi_u32 s22, s18, s17
	s_mul_i32 s19, s19, s17
	s_add_i32 s21, s22, s21
	s_mul_i32 s18, s18, s17
	s_add_i32 s21, s21, s19
	s_mul_hi_u32 s22, s12, s18
	s_mul_i32 s23, s12, s18
	s_mul_hi_u32 s18, s17, s18
	s_mul_hi_u32 s24, s17, s21
	s_mul_i32 s17, s17, s21
	s_mul_hi_u32 s19, s12, s21
	s_add_u32 s17, s18, s17
	s_addc_u32 s18, 0, s24
	s_add_u32 s17, s17, s23
	s_mul_i32 s21, s12, s21
	s_addc_u32 s17, s18, s22
	s_addc_u32 s18, s19, 0
	s_add_u32 s17, s17, s21
	s_addc_u32 s18, 0, s18
	v_add_co_u32 v1, s17, v1, s17
	s_delay_alu instid0(VALU_DEP_1) | instskip(SKIP_2) | instid1(SALU_CYCLE_1)
	s_cmp_lg_u32 s17, 0
	s_addc_u32 s12, s12, s18
	s_ashr_i32 s18, s3, 31
	s_add_u32 s22, s11, s18
	s_addc_u32 s23, s3, s18
	v_readfirstlane_b32 s3, v1
	s_mov_b32 s19, s18
	s_delay_alu instid0(SALU_CYCLE_1) | instskip(NEXT) | instid1(SALU_CYCLE_1)
	s_xor_b64 s[22:23], s[22:23], s[18:19]
	s_mul_i32 s21, s22, s12
	s_delay_alu instid0(VALU_DEP_1)
	s_mul_hi_u32 s24, s22, s3
	s_mul_hi_u32 s17, s22, s12
	;; [unrolled: 1-line block ×3, first 2 shown]
	s_mul_i32 s3, s23, s3
	s_add_u32 s21, s24, s21
	s_addc_u32 s17, 0, s17
	s_mul_hi_u32 s25, s23, s12
	s_add_u32 s3, s21, s3
	s_mul_i32 s12, s23, s12
	s_addc_u32 s3, s17, s26
	s_addc_u32 s17, s25, 0
	s_add_u32 s3, s3, s12
	s_addc_u32 s12, 0, s17
	s_mul_i32 s21, s20, s3
	s_add_u32 s17, s3, 1
	v_sub_co_u32 v1, s21, s22, s21
	s_mul_hi_u32 s22, s20, s3
	s_addc_u32 s24, s12, 0
	s_mul_i32 s25, s20, s12
	s_delay_alu instid0(VALU_DEP_1)
	v_sub_co_u32 v2, s26, v1, s20
	s_add_u32 s27, s3, 2
	s_addc_u32 s28, s12, 0
	s_add_i32 s22, s22, s25
	s_cmp_lg_u32 s21, 0
	v_readfirstlane_b32 s21, v2
	s_subb_u32 s22, s23, s22
	s_cmp_lg_u32 s26, 0
	s_subb_u32 s23, s22, 0
	s_delay_alu instid0(VALU_DEP_1) | instskip(SKIP_4) | instid1(SALU_CYCLE_1)
	s_cmp_ge_u32 s21, s20
	s_cselect_b32 s21, -1, 0
	s_cmp_eq_u32 s23, 0
	v_readfirstlane_b32 s23, v1
	s_cselect_b32 s21, s21, -1
	s_cmp_lg_u32 s21, 0
	s_cselect_b32 s17, s27, s17
	s_cselect_b32 s21, s28, s24
	s_cmp_ge_u32 s23, s20
	s_cselect_b32 s23, -1, 0
	s_cmp_eq_u32 s22, 0
	s_cselect_b32 s22, s23, -1
	s_delay_alu instid0(SALU_CYCLE_1) | instskip(SKIP_2) | instid1(SALU_CYCLE_1)
	s_cmp_lg_u32 s22, 0
	s_cselect_b32 s23, s21, s12
	s_cselect_b32 s22, s17, s3
	s_xor_b64 s[22:23], s[22:23], s[18:19]
	s_delay_alu instid0(SALU_CYCLE_1)
	s_sub_u32 s18, s22, s18
	s_and_not1_b32 vcc_lo, exec_lo, s2
	s_cbranch_vccnz .LBB3_6
.LBB3_5:
	v_cvt_f32_u32_e32 v1, s20
	s_sub_i32 s3, 0, s20
	s_delay_alu instid0(VALU_DEP_1) | instskip(SKIP_2) | instid1(VALU_DEP_1)
	v_rcp_iflag_f32_e32 v1, v1
	s_waitcnt_depctr 0xfff
	v_mul_f32_e32 v1, 0x4f7ffffe, v1
	v_cvt_u32_f32_e32 v1, v1
	s_delay_alu instid0(VALU_DEP_1) | instskip(NEXT) | instid1(VALU_DEP_1)
	v_readfirstlane_b32 s2, v1
	s_mul_i32 s3, s3, s2
	s_delay_alu instid0(SALU_CYCLE_1) | instskip(NEXT) | instid1(SALU_CYCLE_1)
	s_mul_hi_u32 s3, s2, s3
	s_add_i32 s2, s2, s3
	s_delay_alu instid0(SALU_CYCLE_1) | instskip(NEXT) | instid1(SALU_CYCLE_1)
	s_mul_hi_u32 s2, s11, s2
	s_mul_i32 s3, s2, s20
	s_delay_alu instid0(SALU_CYCLE_1)
	s_sub_i32 s3, s11, s3
	s_add_i32 s11, s2, 1
	s_sub_i32 s12, s3, s20
	s_cmp_ge_u32 s3, s20
	s_cselect_b32 s2, s11, s2
	s_cselect_b32 s3, s12, s3
	s_add_i32 s11, s2, 1
	s_cmp_ge_u32 s3, s20
	s_cselect_b32 s18, s11, s2
.LBB3_6:
	s_delay_alu instid0(SALU_CYCLE_1) | instskip(SKIP_3) | instid1(SALU_CYCLE_1)
	s_cmp_eq_u32 s16, s18
	s_mul_hi_u32 s2, s16, s8
	s_cselect_b32 s3, -1, 0
	s_add_i32 s2, s2, s16
	s_lshr_b32 s11, s2, s9
	s_delay_alu instid0(SALU_CYCLE_1) | instskip(NEXT) | instid1(SALU_CYCLE_1)
	s_mul_i32 s2, s11, s10
	s_cmp_eq_u32 s2, s16
	s_mul_hi_u32 s2, s18, s8
	s_cselect_b32 s12, -1, 0
	s_add_i32 s2, s2, s18
	s_delay_alu instid0(SALU_CYCLE_1) | instskip(NEXT) | instid1(SALU_CYCLE_1)
	s_lshr_b32 s2, s2, s9
	s_cmp_eq_u32 s11, s2
	s_mul_i32 s2, s2, s10
	s_cselect_b32 s17, -1, 0
	s_cmp_lg_u32 s2, s18
	s_cselect_b32 s2, -1, 0
	s_or_b32 s3, s3, s12
	s_and_b32 s2, s17, s2
	s_delay_alu instid0(SALU_CYCLE_1) | instskip(NEXT) | instid1(SALU_CYCLE_1)
	s_or_b32 s2, s3, s2
	s_and_b32 vcc_lo, exec_lo, s2
	s_cbranch_vccnz .LBB3_24
; %bb.7:
	s_load_b256 s[24:31], s[0:1], 0x20
	s_waitcnt lgkmcnt(0)
	s_mul_hi_u32 s2, s16, s24
	s_delay_alu instid0(SALU_CYCLE_1) | instskip(NEXT) | instid1(SALU_CYCLE_1)
	s_add_i32 s2, s2, s16
	s_lshr_b32 s17, s2, s25
	s_load_b32 s2, s[0:1], 0x40
	s_mul_i32 s3, s17, s26
	s_delay_alu instid0(SALU_CYCLE_1) | instskip(NEXT) | instid1(SALU_CYCLE_1)
	s_sub_i32 s3, s16, s3
	s_mul_hi_u32 s12, s3, s27
	s_delay_alu instid0(SALU_CYCLE_1) | instskip(NEXT) | instid1(SALU_CYCLE_1)
	s_add_i32 s12, s3, s12
	s_lshr_b32 s18, s12, s28
	s_delay_alu instid0(SALU_CYCLE_1) | instskip(NEXT) | instid1(SALU_CYCLE_1)
	s_mul_i32 s12, s18, s29
	s_sub_i32 s3, s3, s12
	s_delay_alu instid0(SALU_CYCLE_1) | instskip(NEXT) | instid1(SALU_CYCLE_1)
	s_mul_hi_u32 s12, s3, s30
	s_add_i32 s12, s3, s12
	s_delay_alu instid0(SALU_CYCLE_1)
	s_lshr_b32 s12, s12, s31
	s_waitcnt lgkmcnt(0)
	s_mul_i32 s2, s12, s2
	s_lshl_b32 s21, s12, 5
	s_sub_i32 s2, s3, s2
	s_mov_b32 s12, 0
	s_mul_hi_u32 s3, s2, s8
	s_delay_alu instid0(SALU_CYCLE_1) | instskip(NEXT) | instid1(SALU_CYCLE_1)
	s_add_i32 s2, s2, s3
	s_lshr_b32 s19, s2, s9
	s_delay_alu instid0(SALU_CYCLE_1) | instskip(NEXT) | instid1(SALU_CYCLE_1)
	s_add_i32 s19, s19, s14
	s_cmp_lt_i32 s19, s4
	s_cselect_b32 s2, -1, 0
	s_add_i32 s21, s21, s15
	s_delay_alu instid0(SALU_CYCLE_1) | instskip(SKIP_1) | instid1(SALU_CYCLE_1)
	s_cmp_lt_i32 s21, s6
	s_cselect_b32 s3, -1, 0
	s_and_b32 s2, s2, s3
	s_delay_alu instid0(SALU_CYCLE_1)
	s_and_not1_b32 vcc_lo, exec_lo, s2
	s_cbranch_vccnz .LBB3_24
; %bb.8:
	s_load_b128 s[0:3], s[0:1], 0x0
	s_lshl_b32 s22, s20, 7
	s_mov_b32 s23, s12
	s_mul_i32 s4, s17, s4
	s_lshl_b64 s[22:23], s[22:23], 2
	s_mul_i32 s18, s18, s6
	v_cvt_f32_ubyte0_e32 v4, 0
	v_cvt_f32_u32_e32 v5, s20
	s_waitcnt lgkmcnt(0)
	s_add_u32 s6, s2, s22
	s_addc_u32 s17, s3, s23
	s_add_i32 s4, s19, s4
	s_add_i32 s18, s21, s18
	s_mul_i32 s4, s4, s5
	s_delay_alu instid0(SALU_CYCLE_1) | instskip(NEXT) | instid1(SALU_CYCLE_1)
	s_add_i32 s18, s18, s4
	v_lshl_or_b32 v1, s18, 8, v0
	v_lshl_or_b32 v0, s15, 8, v0
	s_delay_alu instid0(VALU_DEP_2) | instskip(NEXT) | instid1(VALU_DEP_1)
	v_ashrrev_i32_e32 v2, 31, v1
	v_lshlrev_b64 v[1:2], 2, v[1:2]
	s_delay_alu instid0(VALU_DEP_1) | instskip(NEXT) | instid1(VALU_DEP_2)
	v_add_co_u32 v1, vcc_lo, s0, v1
	v_add_co_ci_u32_e32 v2, vcc_lo, s1, v2, vcc_lo
	s_add_i32 s0, s14, s13
	s_delay_alu instid0(SALU_CYCLE_1) | instskip(SKIP_2) | instid1(SALU_CYCLE_1)
	s_lshl_b32 s0, s0, 5
	global_load_b32 v3, v[1:2], off
	s_add_i32 s0, s0, s15
	s_ashr_i32 s1, s0, 31
	s_delay_alu instid0(SALU_CYCLE_1) | instskip(NEXT) | instid1(SALU_CYCLE_1)
	s_lshl_b64 s[0:1], s[0:1], 3
	s_add_u32 s0, s2, s0
	s_addc_u32 s1, s3, s1
	s_add_i32 s19, s13, -1
	s_load_b64 s[0:1], s[0:1], 0x0
	v_fmac_f32_e32 v5, 0x4f800000, v4
	s_sub_i32 s18, 0, s20
	s_waitcnt lgkmcnt(0)
	v_mov_b32_e32 v8, s0
	s_delay_alu instid0(VALU_DEP_2) | instskip(SKIP_2) | instid1(VALU_DEP_2)
	v_rcp_f32_e32 v4, v5
	v_cvt_f32_u32_e32 v5, s20
	v_mov_b32_e32 v7, s1
	v_rcp_iflag_f32_e32 v5, v5
	s_waitcnt_depctr 0xfff
	v_mul_f32_e32 v4, 0x5f7ffffc, v4
	s_delay_alu instid0(VALU_DEP_1) | instskip(SKIP_1) | instid1(VALU_DEP_2)
	v_mul_f32_e32 v6, 0x2f800000, v4
	v_mul_f32_e32 v9, 0x4f7ffffe, v5
	v_trunc_f32_e32 v6, v6
	s_delay_alu instid0(VALU_DEP_1) | instskip(SKIP_1) | instid1(VALU_DEP_4)
	v_fmac_f32_e32 v4, 0xcf800000, v6
	v_cvt_u32_f32_e32 v5, v6
	v_cvt_u32_f32_e32 v6, v9
	s_delay_alu instid0(VALU_DEP_3)
	v_cvt_u32_f32_e32 v4, v4
.LBB3_9:                                ; =>This Inner Loop Header: Depth=1
	s_mul_hi_i32 s13, s19, s7
	s_mul_i32 s4, s19, s7
	s_cmp_lg_u64 s[12:13], 0
	s_mov_b32 s5, -1
                                        ; implicit-def: $sgpr0_sgpr1
	s_cbranch_scc0 .LBB3_11
; %bb.10:                               ;   in Loop: Header=BB3_9 Depth=1
	v_readfirstlane_b32 s0, v4
	v_readfirstlane_b32 s1, v5
	s_sub_u32 s5, 0, s20
	s_subb_u32 s21, 0, 0
	s_delay_alu instid0(VALU_DEP_2) | instskip(NEXT) | instid1(VALU_DEP_1)
	s_mul_hi_u32 s22, s5, s0
	s_mul_i32 s23, s5, s1
	s_mul_i32 s24, s21, s0
	s_add_i32 s22, s22, s23
	s_mul_i32 s23, s5, s0
	s_add_i32 s22, s22, s24
	s_mul_hi_u32 s24, s0, s23
	s_mul_i32 s25, s0, s22
	s_mul_hi_u32 s0, s0, s22
	s_add_u32 s24, s24, s25
	s_mul_i32 s26, s1, s23
	s_addc_u32 s0, 0, s0
	s_mul_hi_u32 s23, s1, s23
	s_mul_hi_u32 s25, s1, s22
	s_add_u32 s24, s24, s26
	s_addc_u32 s0, s0, s23
	s_mul_i32 s22, s1, s22
	s_addc_u32 s23, s25, 0
	s_add_u32 s0, s0, s22
	s_addc_u32 s22, 0, s23
	v_add_co_u32 v9, s0, v4, s0
	s_delay_alu instid0(VALU_DEP_1) | instskip(SKIP_1) | instid1(VALU_DEP_1)
	s_cmp_lg_u32 s0, 0
	s_addc_u32 s1, s1, s22
	v_readfirstlane_b32 s0, v9
	s_mul_i32 s22, s5, s1
	s_delay_alu instid0(VALU_DEP_1)
	s_mul_hi_u32 s23, s5, s0
	s_mul_i32 s21, s21, s0
	s_add_i32 s22, s23, s22
	s_mul_i32 s5, s5, s0
	s_add_i32 s22, s22, s21
	s_mul_hi_u32 s21, s1, s5
	s_mul_i32 s24, s1, s5
	s_mul_i32 s25, s0, s22
	s_mul_hi_u32 s5, s0, s5
	s_mul_hi_u32 s0, s0, s22
	s_add_u32 s5, s5, s25
	s_addc_u32 s0, 0, s0
	s_mul_hi_u32 s23, s1, s22
	s_add_u32 s5, s5, s24
	s_addc_u32 s0, s0, s21
	s_mul_i32 s5, s1, s22
	s_addc_u32 s21, s23, 0
	s_add_u32 s0, s0, s5
	s_addc_u32 s5, 0, s21
	v_add_co_u32 v9, s0, v9, s0
	s_delay_alu instid0(VALU_DEP_1) | instskip(SKIP_2) | instid1(SALU_CYCLE_1)
	s_cmp_lg_u32 s0, 0
	s_addc_u32 s5, s1, s5
	s_ashr_i32 s0, s13, 31
	s_add_u32 s22, s4, s0
	s_addc_u32 s23, s13, s0
	v_readfirstlane_b32 s13, v9
	s_mov_b32 s1, s0
	s_delay_alu instid0(SALU_CYCLE_1) | instskip(NEXT) | instid1(SALU_CYCLE_1)
	s_xor_b64 s[22:23], s[22:23], s[0:1]
	s_mul_i32 s21, s22, s5
	s_delay_alu instid0(VALU_DEP_1)
	s_mul_hi_u32 s24, s22, s13
	s_mul_hi_u32 s25, s22, s5
	s_add_u32 s21, s24, s21
	s_mul_i32 s26, s23, s13
	s_addc_u32 s24, 0, s25
	s_mul_hi_u32 s13, s23, s13
	s_mul_hi_u32 s25, s23, s5
	s_add_u32 s21, s21, s26
	s_addc_u32 s13, s24, s13
	s_mul_i32 s5, s23, s5
	s_addc_u32 s21, s25, 0
	s_add_u32 s5, s13, s5
	s_addc_u32 s13, 0, s21
	s_mul_i32 s24, s20, s5
	s_add_u32 s21, s5, 1
	v_sub_co_u32 v9, s22, s22, s24
	s_addc_u32 s24, s13, 0
	s_mul_i32 s26, s20, s13
	s_mul_hi_u32 s28, s20, s5
	s_delay_alu instid0(VALU_DEP_1)
	v_sub_co_u32 v10, s27, v9, s20
	s_add_u32 s25, s5, 2
	s_addc_u32 s29, s13, 0
	s_add_i32 s28, s28, s26
	s_cmp_lg_u32 s22, 0
	v_readfirstlane_b32 s22, v10
	s_subb_u32 s23, s23, s28
	s_cmp_lg_u32 s27, 0
	s_subb_u32 s26, s23, 0
	s_delay_alu instid0(VALU_DEP_1) | instskip(SKIP_4) | instid1(SALU_CYCLE_1)
	s_cmp_ge_u32 s22, s20
	s_cselect_b32 s22, -1, 0
	s_cmp_eq_u32 s26, 0
	v_readfirstlane_b32 s26, v9
	s_cselect_b32 s22, s22, -1
	s_cmp_lg_u32 s22, 0
	s_cselect_b32 s21, s25, s21
	s_cselect_b32 s22, s29, s24
	s_cmp_ge_u32 s26, s20
	s_cselect_b32 s24, -1, 0
	s_cmp_eq_u32 s23, 0
	s_cselect_b32 s23, s24, -1
	s_delay_alu instid0(SALU_CYCLE_1) | instskip(SKIP_4) | instid1(SALU_CYCLE_1)
	s_cmp_lg_u32 s23, 0
	s_cselect_b32 s23, s22, s13
	s_cselect_b32 s22, s21, s5
	s_mov_b32 s5, 0
	s_xor_b64 s[22:23], s[22:23], s[0:1]
	s_sub_u32 s0, s22, s0
.LBB3_11:                               ;   in Loop: Header=BB3_9 Depth=1
	s_and_not1_b32 vcc_lo, exec_lo, s5
	s_cbranch_vccnz .LBB3_13
; %bb.12:                               ;   in Loop: Header=BB3_9 Depth=1
	v_readfirstlane_b32 s0, v6
	s_delay_alu instid0(VALU_DEP_1) | instskip(NEXT) | instid1(SALU_CYCLE_1)
	s_mul_i32 s1, s18, s0
	s_mul_hi_u32 s1, s0, s1
	s_delay_alu instid0(SALU_CYCLE_1) | instskip(NEXT) | instid1(SALU_CYCLE_1)
	s_add_i32 s0, s0, s1
	s_mul_hi_u32 s0, s4, s0
	s_delay_alu instid0(SALU_CYCLE_1) | instskip(NEXT) | instid1(SALU_CYCLE_1)
	s_mul_i32 s1, s0, s20
	s_sub_i32 s1, s4, s1
	s_add_i32 s4, s0, 1
	s_sub_i32 s5, s1, s20
	s_cmp_ge_u32 s1, s20
	s_cselect_b32 s0, s4, s0
	s_cselect_b32 s1, s5, s1
	s_add_i32 s4, s0, 1
	s_cmp_ge_u32 s1, s20
	s_cselect_b32 s0, s4, s0
.LBB3_13:                               ;   in Loop: Header=BB3_9 Depth=1
	s_delay_alu instid0(SALU_CYCLE_1)
	s_cmp_lg_u32 s16, s0
	s_cbranch_scc0 .LBB3_17
; %bb.14:                               ;   in Loop: Header=BB3_9 Depth=1
	s_add_i32 s22, s19, s14
	s_mov_b32 s5, s12
	s_add_i32 s1, s22, s20
	s_mov_b32 s21, s16
	s_lshl_b32 s1, s1, 5
	s_delay_alu instid0(SALU_CYCLE_1) | instskip(SKIP_2) | instid1(SALU_CYCLE_1)
	s_add_i32 s4, s1, s15
	s_mul_hi_u32 s1, s0, s8
	s_lshl_b64 s[4:5], s[4:5], 3
	s_add_u32 s4, s2, s4
	s_addc_u32 s5, s3, s5
	s_add_i32 s1, s1, s0
	s_delay_alu instid0(SALU_CYCLE_1) | instskip(NEXT) | instid1(SALU_CYCLE_1)
	s_lshr_b32 s1, s1, s9
	s_mul_i32 s13, s1, s10
	s_delay_alu instid0(SALU_CYCLE_1) | instskip(SKIP_3) | instid1(SALU_CYCLE_1)
	s_cmp_eq_u32 s13, s0
	s_cselect_b32 s13, -1, 0
	s_cmp_lt_u32 s1, s11
	s_cselect_b32 s1, -1, 0
	s_or_b32 s1, s1, s13
	s_mov_b32 s13, -1
	s_and_b32 vcc_lo, exec_lo, s1
	s_mov_b32 s1, s19
	s_cbranch_vccnz .LBB3_16
; %bb.15:                               ;   in Loop: Header=BB3_9 Depth=1
	s_add_i32 s1, s19, -1
	s_mov_b32 s13, 0
	s_mov_b32 s21, s0
.LBB3_16:                               ;   in Loop: Header=BB3_9 Depth=1
	v_lshl_add_u32 v9, s22, 13, v0
	s_load_b64 s[4:5], s[4:5], 0x0
	s_delay_alu instid0(VALU_DEP_1) | instskip(NEXT) | instid1(VALU_DEP_1)
	v_ashrrev_i32_e32 v10, 31, v9
	v_lshlrev_b64 v[9:10], 2, v[9:10]
	s_delay_alu instid0(VALU_DEP_1) | instskip(NEXT) | instid1(VALU_DEP_2)
	v_add_co_u32 v9, vcc_lo, s6, v9
	v_add_co_ci_u32_e32 v10, vcc_lo, s17, v10, vcc_lo
	s_waitcnt lgkmcnt(0)
	v_max_f32_e64 v11, s4, s4
	global_load_b32 v10, v[9:10], off
	v_max_f32_e32 v9, v8, v8
	s_delay_alu instid0(VALU_DEP_1) | instskip(NEXT) | instid1(VALU_DEP_1)
	v_max_f32_e32 v9, v9, v11
	v_sub_f32_e32 v12, v8, v9
	s_delay_alu instid0(VALU_DEP_1) | instskip(NEXT) | instid1(VALU_DEP_1)
	v_dual_mul_f32 v14, 0x3fb8aa3b, v12 :: v_dual_sub_f32 v11, s4, v9
	v_rndne_f32_e32 v18, v14
	s_delay_alu instid0(VALU_DEP_2) | instskip(SKIP_2) | instid1(VALU_DEP_4)
	v_mul_f32_e32 v13, 0x3fb8aa3b, v11
	v_fma_f32 v17, 0x3fb8aa3b, v12, -v14
	v_cmp_ngt_f32_e32 vcc_lo, 0xc2ce8ed0, v11
	v_sub_f32_e32 v14, v14, v18
	s_delay_alu instid0(VALU_DEP_4) | instskip(SKIP_2) | instid1(VALU_DEP_3)
	v_fma_f32 v15, 0x3fb8aa3b, v11, -v13
	v_rndne_f32_e32 v16, v13
	v_fmac_f32_e32 v17, 0x32a5705f, v12
	v_fmac_f32_e32 v15, 0x32a5705f, v11
	s_delay_alu instid0(VALU_DEP_2) | instskip(NEXT) | instid1(VALU_DEP_1)
	v_dual_sub_f32 v13, v13, v16 :: v_dual_add_f32 v14, v14, v17
	v_add_f32_e32 v13, v13, v15
	s_delay_alu instid0(VALU_DEP_2) | instskip(SKIP_2) | instid1(VALU_DEP_3)
	v_exp_f32_e32 v14, v14
	v_cvt_i32_f32_e32 v15, v16
	v_cvt_i32_f32_e32 v16, v18
	v_exp_f32_e32 v13, v13
	s_waitcnt_depctr 0xfff
	v_ldexp_f32 v14, v14, v16
	v_ldexp_f32 v13, v13, v15
	s_delay_alu instid0(VALU_DEP_1) | instskip(SKIP_1) | instid1(VALU_DEP_4)
	v_cndmask_b32_e32 v13, 0, v13, vcc_lo
	v_cmp_ngt_f32_e32 vcc_lo, 0xc2ce8ed0, v12
	v_cndmask_b32_e32 v14, 0, v14, vcc_lo
	v_cmp_nlt_f32_e32 vcc_lo, 0x42b17218, v11
	s_delay_alu instid0(VALU_DEP_4) | instskip(SKIP_1) | instid1(VALU_DEP_4)
	v_cndmask_b32_e32 v13, 0x7f800000, v13, vcc_lo
	v_cmp_nlt_f32_e32 vcc_lo, 0x42b17218, v12
	v_cndmask_b32_e32 v14, 0x7f800000, v14, vcc_lo
	v_cmp_le_f32_e32 vcc_lo, 0xc1a00000, v11
	s_delay_alu instid0(VALU_DEP_4) | instskip(SKIP_1) | instid1(VALU_DEP_4)
	v_cndmask_b32_e32 v11, 0, v13, vcc_lo
	v_cmp_le_f32_e32 vcc_lo, 0xc1a00000, v12
	v_cndmask_b32_e32 v12, 0, v14, vcc_lo
	s_waitcnt vmcnt(0)
	s_delay_alu instid0(VALU_DEP_3) | instskip(NEXT) | instid1(VALU_DEP_1)
	v_mul_f32_e32 v10, v10, v11
	v_dual_mul_f32 v11, s5, v11 :: v_dual_fmac_f32 v10, v3, v12
	s_delay_alu instid0(VALU_DEP_1)
	v_fmac_f32_e32 v11, v7, v12
	s_cbranch_execz .LBB3_18
	s_branch .LBB3_19
.LBB3_17:                               ;   in Loop: Header=BB3_9 Depth=1
                                        ; implicit-def: $sgpr13
                                        ; implicit-def: $vgpr10
                                        ; implicit-def: $vgpr9
                                        ; implicit-def: $vgpr11
                                        ; implicit-def: $sgpr1
                                        ; implicit-def: $sgpr21
.LBB3_18:                               ;   in Loop: Header=BB3_9 Depth=1
	v_mov_b32_e32 v11, v7
	s_waitcnt vmcnt(0)
	v_dual_mov_b32 v9, v8 :: v_dual_mov_b32 v10, v3
	s_add_i32 s1, s19, -1
	s_mov_b32 s13, 0
	s_mov_b32 s21, s16
.LBB3_19:                               ;   in Loop: Header=BB3_9 Depth=1
	s_and_not1_b32 vcc_lo, exec_lo, s13
	s_cbranch_vccz .LBB3_23
; %bb.20:                               ;   in Loop: Header=BB3_9 Depth=1
	v_dual_mov_b32 v7, v11 :: v_dual_mov_b32 v8, v9
	s_waitcnt vmcnt(0)
	v_mov_b32_e32 v3, v10
	s_mov_b32 s16, s21
	s_mov_b32 s19, s1
	s_branch .LBB3_9
.LBB3_21:
                                        ; implicit-def: $sgpr16_sgpr17
	s_load_b128 s[8:11], s[0:1], 0x44
	s_branch .LBB3_2
.LBB3_22:
                                        ; implicit-def: $sgpr18_sgpr19
	s_branch .LBB3_5
.LBB3_23:
	v_div_scale_f32 v0, null, v11, v11, v10
	s_waitcnt vmcnt(0)
	s_delay_alu instid0(VALU_DEP_1) | instskip(SKIP_2) | instid1(VALU_DEP_1)
	v_rcp_f32_e32 v3, v0
	s_waitcnt_depctr 0xfff
	v_fma_f32 v4, -v0, v3, 1.0
	v_fmac_f32_e32 v3, v4, v3
	v_div_scale_f32 v4, vcc_lo, v10, v11, v10
	s_delay_alu instid0(VALU_DEP_1) | instskip(NEXT) | instid1(VALU_DEP_1)
	v_mul_f32_e32 v5, v4, v3
	v_fma_f32 v6, -v0, v5, v4
	s_delay_alu instid0(VALU_DEP_1) | instskip(NEXT) | instid1(VALU_DEP_1)
	v_fmac_f32_e32 v5, v6, v3
	v_fma_f32 v0, -v0, v5, v4
	s_delay_alu instid0(VALU_DEP_1) | instskip(NEXT) | instid1(VALU_DEP_1)
	v_div_fmas_f32 v0, v0, v3, v5
	v_div_fixup_f32 v0, v0, v11, v10
	global_store_b32 v[1:2], v0, off
.LBB3_24:
	s_nop 0
	s_sendmsg sendmsg(MSG_DEALLOC_VGPRS)
	s_endpgm
	.section	.rodata,"a",@progbits
	.p2align	6, 0x0
	.amdhsa_kernel _ZL33flash_attn_stream_k_fixup_generalILi256ELi1ELi32EEvPfPK15HIP_vector_typeIfLj2EEiiiiS1_IjLj3EES5_S5_S5_
		.amdhsa_group_segment_fixed_size 0
		.amdhsa_private_segment_fixed_size 0
		.amdhsa_kernarg_size 336
		.amdhsa_user_sgpr_count 13
		.amdhsa_user_sgpr_dispatch_ptr 0
		.amdhsa_user_sgpr_queue_ptr 0
		.amdhsa_user_sgpr_kernarg_segment_ptr 1
		.amdhsa_user_sgpr_dispatch_id 0
		.amdhsa_user_sgpr_private_segment_size 0
		.amdhsa_wavefront_size32 1
		.amdhsa_uses_dynamic_stack 0
		.amdhsa_enable_private_segment 0
		.amdhsa_system_sgpr_workgroup_id_x 1
		.amdhsa_system_sgpr_workgroup_id_y 1
		.amdhsa_system_sgpr_workgroup_id_z 1
		.amdhsa_system_sgpr_workgroup_info 0
		.amdhsa_system_vgpr_workitem_id 0
		.amdhsa_next_free_vgpr 19
		.amdhsa_next_free_sgpr 32
		.amdhsa_reserve_vcc 1
		.amdhsa_float_round_mode_32 0
		.amdhsa_float_round_mode_16_64 0
		.amdhsa_float_denorm_mode_32 3
		.amdhsa_float_denorm_mode_16_64 3
		.amdhsa_dx10_clamp 1
		.amdhsa_ieee_mode 1
		.amdhsa_fp16_overflow 0
		.amdhsa_workgroup_processor_mode 1
		.amdhsa_memory_ordered 1
		.amdhsa_forward_progress 0
		.amdhsa_shared_vgpr_count 0
		.amdhsa_exception_fp_ieee_invalid_op 0
		.amdhsa_exception_fp_denorm_src 0
		.amdhsa_exception_fp_ieee_div_zero 0
		.amdhsa_exception_fp_ieee_overflow 0
		.amdhsa_exception_fp_ieee_underflow 0
		.amdhsa_exception_fp_ieee_inexact 0
		.amdhsa_exception_int_div_zero 0
	.end_amdhsa_kernel
	.section	.text._ZL33flash_attn_stream_k_fixup_generalILi256ELi1ELi32EEvPfPK15HIP_vector_typeIfLj2EEiiiiS1_IjLj3EES5_S5_S5_,"axG",@progbits,_ZL33flash_attn_stream_k_fixup_generalILi256ELi1ELi32EEvPfPK15HIP_vector_typeIfLj2EEiiiiS1_IjLj3EES5_S5_S5_,comdat
.Lfunc_end3:
	.size	_ZL33flash_attn_stream_k_fixup_generalILi256ELi1ELi32EEvPfPK15HIP_vector_typeIfLj2EEiiiiS1_IjLj3EES5_S5_S5_, .Lfunc_end3-_ZL33flash_attn_stream_k_fixup_generalILi256ELi1ELi32EEvPfPK15HIP_vector_typeIfLj2EEiiiiS1_IjLj3EES5_S5_S5_
                                        ; -- End function
	.section	.AMDGPU.csdata,"",@progbits
; Kernel info:
; codeLenInByte = 3200
; NumSgprs: 34
; NumVgprs: 19
; ScratchSize: 0
; MemoryBound: 0
; FloatMode: 240
; IeeeMode: 1
; LDSByteSize: 0 bytes/workgroup (compile time only)
; SGPRBlocks: 4
; VGPRBlocks: 2
; NumSGPRsForWavesPerEU: 34
; NumVGPRsForWavesPerEU: 19
; Occupancy: 16
; WaveLimiterHint : 0
; COMPUTE_PGM_RSRC2:SCRATCH_EN: 0
; COMPUTE_PGM_RSRC2:USER_SGPR: 13
; COMPUTE_PGM_RSRC2:TRAP_HANDLER: 0
; COMPUTE_PGM_RSRC2:TGID_X_EN: 1
; COMPUTE_PGM_RSRC2:TGID_Y_EN: 1
; COMPUTE_PGM_RSRC2:TGID_Z_EN: 1
; COMPUTE_PGM_RSRC2:TIDIG_COMP_CNT: 0
	.section	.text._ZL26flash_attn_combine_resultsILi256EEvPKfPK15HIP_vector_typeIfLj2EEPfi,"axG",@progbits,_ZL26flash_attn_combine_resultsILi256EEvPKfPK15HIP_vector_typeIfLj2EEPfi,comdat
	.globl	_ZL26flash_attn_combine_resultsILi256EEvPKfPK15HIP_vector_typeIfLj2EEPfi ; -- Begin function _ZL26flash_attn_combine_resultsILi256EEvPKfPK15HIP_vector_typeIfLj2EEPfi
	.p2align	8
	.type	_ZL26flash_attn_combine_resultsILi256EEvPKfPK15HIP_vector_typeIfLj2EEPfi,@function
_ZL26flash_attn_combine_resultsILi256EEvPKfPK15HIP_vector_typeIfLj2EEPfi: ; @_ZL26flash_attn_combine_resultsILi256EEvPKfPK15HIP_vector_typeIfLj2EEPfi
; %bb.0:
	s_clause 0x3
	s_load_b64 s[2:3], s[0:1], 0x20
	s_load_b32 s11, s[0:1], 0x18
	s_load_b128 s[4:7], s[0:1], 0x0
	s_load_b64 s[8:9], s[0:1], 0x10
	v_lshlrev_b32_e32 v5, 2, v0
	s_mov_b32 s12, exec_lo
	s_waitcnt lgkmcnt(0)
	s_mul_i32 s0, s2, s15
	s_lshl_b32 s1, s11, 1
	s_add_i32 s0, s0, s13
	s_delay_alu instid0(SALU_CYCLE_1) | instskip(NEXT) | instid1(SALU_CYCLE_1)
	s_mul_i32 s10, s0, s3
	s_add_i32 s10, s10, s14
	s_delay_alu instid0(SALU_CYCLE_1)
	s_mul_i32 s2, s10, s11
	v_cmpx_gt_i32_e64 s1, v0
	s_cbranch_execz .LBB4_3
; %bb.1:
	s_ashr_i32 s3, s2, 31
	v_dual_mov_b32 v4, v0 :: v_dual_add_nc_u32 v3, 0, v5
	s_lshl_b64 s[14:15], s[2:3], 3
	s_delay_alu instid0(SALU_CYCLE_1) | instskip(SKIP_2) | instid1(VALU_DEP_1)
	s_add_u32 s0, s6, s14
	s_addc_u32 s3, s7, s15
	v_add_co_u32 v1, s0, s0, v5
	v_add_co_ci_u32_e64 v2, null, s3, 0, s0
	s_mov_b32 s3, 0
	.p2align	6
.LBB4_2:                                ; =>This Inner Loop Header: Depth=1
	global_load_b32 v6, v[1:2], off
	v_add_nc_u32_e32 v4, 0x100, v4
	v_add_co_u32 v1, vcc_lo, 0x400, v1
	v_add_co_ci_u32_e32 v2, vcc_lo, 0, v2, vcc_lo
	s_delay_alu instid0(VALU_DEP_3) | instskip(NEXT) | instid1(VALU_DEP_1)
	v_cmp_le_i32_e64 s0, s1, v4
	s_or_b32 s3, s0, s3
	s_waitcnt vmcnt(0)
	ds_store_b32 v3, v6
	v_add_nc_u32_e32 v3, 0x400, v3
	s_and_not1_b32 exec_lo, exec_lo, s3
	s_cbranch_execnz .LBB4_2
.LBB4_3:
	s_or_b32 exec_lo, exec_lo, s12
	v_mov_b32_e32 v1, 0
	s_waitcnt lgkmcnt(0)
	s_barrier
	buffer_gl0_inv
	s_cmp_lt_i32 s11, 2
	ds_load_b32 v6, v1
	s_cbranch_scc1 .LBB4_11
; %bb.4:
	s_add_i32 s1, s11, -2
	s_add_i32 s0, s11, -1
	s_cmp_lt_u32 s1, 7
	s_cbranch_scc1 .LBB4_8
; %bb.5:
	s_mov_b32 s3, 0
	s_add_i32 s1, 0, 8
	s_and_b32 s6, s0, -8
	.p2align	6
.LBB4_6:                                ; =>This Inner Loop Header: Depth=1
	v_mov_b32_e32 v9, s1
	s_mov_b32 s7, s3
	s_add_i32 s3, s3, 8
	s_add_i32 s1, s1, 64
	s_cmp_eq_u32 s6, s3
	ds_load_2addr_b32 v[1:2], v9 offset1:2
	ds_load_2addr_b32 v[3:4], v9 offset0:4 offset1:6
	ds_load_2addr_b32 v[7:8], v9 offset0:8 offset1:10
	;; [unrolled: 1-line block ×3, first 2 shown]
	s_waitcnt lgkmcnt(3)
	v_max3_f32 v1, v6, v1, v2
	s_waitcnt lgkmcnt(2)
	s_delay_alu instid0(VALU_DEP_1) | instskip(SKIP_1) | instid1(VALU_DEP_1)
	v_max3_f32 v1, v1, v3, v4
	s_waitcnt lgkmcnt(1)
	v_max3_f32 v1, v1, v7, v8
	s_waitcnt lgkmcnt(0)
	s_delay_alu instid0(VALU_DEP_1)
	v_max3_f32 v6, v1, v9, v10
	s_cbranch_scc0 .LBB4_6
; %bb.7:
	s_add_i32 s1, s7, 9
	s_and_b32 s0, s0, 7
	s_delay_alu instid0(SALU_CYCLE_1)
	s_cmp_eq_u32 s0, 0
	s_cbranch_scc0 .LBB4_9
	s_branch .LBB4_11
.LBB4_8:
	s_mov_b32 s1, 1
	s_and_b32 s0, s0, 7
	s_delay_alu instid0(SALU_CYCLE_1)
	s_cmp_eq_u32 s0, 0
	s_cbranch_scc1 .LBB4_11
.LBB4_9:
	s_lshl_b32 s1, s1, 3
	s_delay_alu instid0(SALU_CYCLE_1)
	s_add_i32 s1, s1, 0
.LBB4_10:                               ; =>This Inner Loop Header: Depth=1
	s_waitcnt lgkmcnt(0)
	s_delay_alu instid0(VALU_DEP_1)
	v_dual_mov_b32 v1, s1 :: v_dual_max_f32 v2, v6, v6
	s_add_i32 s0, s0, -1
	s_add_i32 s1, s1, 8
	s_cmp_lg_u32 s0, 0
	ds_load_b32 v1, v1
	s_waitcnt lgkmcnt(0)
	v_max_f32_e32 v1, v1, v1
	s_delay_alu instid0(VALU_DEP_1)
	v_max_f32_e32 v6, v2, v1
	s_cbranch_scc1 .LBB4_10
.LBB4_11:
	s_cmp_lt_i32 s11, 1
	s_cbranch_scc1 .LBB4_16
; %bb.12:
	s_lshl_b32 s0, s2, 8
	v_mov_b32_e32 v7, 0
	s_ashr_i32 s1, s0, 31
	s_mov_b32 s13, 0
	s_lshl_b64 s[0:1], s[0:1], 2
	s_delay_alu instid0(SALU_CYCLE_1)
	s_add_u32 s6, s4, s0
	s_addc_u32 s7, s5, s1
	s_cmp_lt_u32 s11, 8
	s_cbranch_scc1 .LBB4_17
; %bb.13:
	v_or_b32_e32 v1, 0x700, v0
	v_dual_mov_b32 v4, 0 :: v_dual_mov_b32 v7, 0
	v_mov_b32_e32 v8, 0
	s_and_b32 s12, s11, 0x7ffffff8
	s_mov_b32 s14, 0
.LBB4_14:                               ; =>This Inner Loop Header: Depth=1
	s_delay_alu instid0(VALU_DEP_2) | instskip(SKIP_3) | instid1(VALU_DEP_2)
	v_dual_mov_b32 v2, v4 :: v_dual_add_nc_u32 v3, 0xfffff900, v1
	v_mov_b32_e32 v21, s13
	s_add_i32 s14, s14, 8
	s_add_i32 s13, s13, 64
	v_lshlrev_b64 v[9:10], 2, v[3:4]
	v_add_nc_u32_e32 v3, 0xfffffa00, v1
	v_lshlrev_b64 v[11:12], 2, v[1:2]
	s_cmp_eq_u32 s12, s14
	s_delay_alu instid0(VALU_DEP_2) | instskip(NEXT) | instid1(VALU_DEP_4)
	v_lshlrev_b64 v[13:14], 2, v[3:4]
	v_add_co_u32 v9, vcc_lo, s6, v9
	v_add_co_ci_u32_e32 v10, vcc_lo, s7, v10, vcc_lo
	v_add_nc_u32_e32 v3, 0xfffffb00, v1
	s_delay_alu instid0(VALU_DEP_4)
	v_add_co_u32 v13, vcc_lo, s6, v13
	global_load_b32 v25, v[9:10], off
	v_add_co_ci_u32_e32 v14, vcc_lo, s7, v14, vcc_lo
	v_lshlrev_b64 v[15:16], 2, v[3:4]
	v_add_nc_u32_e32 v3, 0xfffffc00, v1
	global_load_b32 v26, v[13:14], off
	v_add_co_u32 v13, vcc_lo, s6, v15
	v_add_co_ci_u32_e32 v14, vcc_lo, s7, v16, vcc_lo
	v_lshlrev_b64 v[9:10], 2, v[3:4]
	v_add_nc_u32_e32 v3, 0xfffffd00, v1
	global_load_b32 v27, v[13:14], off
	v_add_co_u32 v9, vcc_lo, s6, v9
	v_lshlrev_b64 v[15:16], 2, v[3:4]
	v_add_nc_u32_e32 v3, 0xfffffe00, v1
	v_add_co_ci_u32_e32 v10, vcc_lo, s7, v10, vcc_lo
	global_load_b32 v28, v[9:10], off
	v_lshlrev_b64 v[13:14], 2, v[3:4]
	v_add_nc_u32_e32 v3, 0xffffff00, v1
	v_add_co_u32 v9, vcc_lo, s6, v15
	v_add_co_ci_u32_e32 v10, vcc_lo, s7, v16, vcc_lo
	s_delay_alu instid0(VALU_DEP_4) | instskip(NEXT) | instid1(VALU_DEP_4)
	v_add_co_u32 v13, vcc_lo, s6, v13
	v_lshlrev_b64 v[2:3], 2, v[3:4]
	v_add_co_ci_u32_e32 v14, vcc_lo, s7, v14, vcc_lo
	s_clause 0x1
	global_load_b32 v29, v[9:10], off
	global_load_b32 v30, v[13:14], off
	v_add_co_u32 v2, vcc_lo, s6, v2
	v_add_co_ci_u32_e32 v3, vcc_lo, s7, v3, vcc_lo
	v_add_co_u32 v9, vcc_lo, s6, v11
	v_add_co_ci_u32_e32 v10, vcc_lo, s7, v12, vcc_lo
	s_clause 0x1
	global_load_b32 v2, v[2:3], off
	global_load_b32 v3, v[9:10], off
	ds_load_2addr_b64 v[9:12], v21 offset1:1
	ds_load_2addr_b64 v[13:16], v21 offset0:2 offset1:3
	ds_load_2addr_b64 v[17:20], v21 offset0:4 offset1:5
	;; [unrolled: 1-line block ×3, first 2 shown]
	v_add_nc_u32_e32 v1, 0x800, v1
	s_waitcnt lgkmcnt(1)
	v_sub_f32_e32 v19, v19, v6
	v_sub_f32_e32 v11, v11, v6
	s_waitcnt lgkmcnt(0)
	v_sub_f32_e32 v23, v23, v6
	s_delay_alu instid0(VALU_DEP_3) | instskip(NEXT) | instid1(VALU_DEP_3)
	v_dual_sub_f32 v13, v13, v6 :: v_dual_mul_f32 v36, 0x3fb8aa3b, v19
	v_mul_f32_e32 v32, 0x3fb8aa3b, v11
	s_delay_alu instid0(VALU_DEP_2) | instskip(SKIP_1) | instid1(VALU_DEP_4)
	v_dual_mul_f32 v38, 0x3fb8aa3b, v23 :: v_dual_mul_f32 v33, 0x3fb8aa3b, v13
	v_cmp_ngt_f32_e32 vcc_lo, 0xc2ce8ed0, v13
	v_fma_f32 v49, 0x3fb8aa3b, v19, -v36
	s_delay_alu instid0(VALU_DEP_4) | instskip(SKIP_4) | instid1(VALU_DEP_4)
	v_fma_f32 v41, 0x3fb8aa3b, v11, -v32
	v_rndne_f32_e32 v42, v32
	v_fma_f32 v43, 0x3fb8aa3b, v13, -v33
	v_rndne_f32_e32 v44, v33
	v_rndne_f32_e32 v50, v36
	v_dual_fmac_f32 v41, 0x32a5705f, v11 :: v_dual_sub_f32 v32, v32, v42
	v_sub_f32_e32 v15, v15, v6
	v_fmac_f32_e32 v43, 0x32a5705f, v13
	v_sub_f32_e32 v33, v33, v44
	v_cvt_i32_f32_e32 v42, v42
	v_dual_add_f32 v32, v32, v41 :: v_dual_sub_f32 v9, v9, v6
	v_mul_f32_e32 v34, 0x3fb8aa3b, v15
	s_delay_alu instid0(VALU_DEP_4) | instskip(SKIP_1) | instid1(VALU_DEP_4)
	v_add_f32_e32 v33, v33, v43
	v_cvt_i32_f32_e32 v44, v44
	v_exp_f32_e32 v32, v32
	v_mul_f32_e32 v31, 0x3fb8aa3b, v9
	v_fma_f32 v45, 0x3fb8aa3b, v15, -v34
	v_rndne_f32_e32 v46, v34
	v_exp_f32_e32 v33, v33
	v_cmp_ngt_f32_e64 s5, 0xc2ce8ed0, v9
	v_fma_f32 v39, 0x3fb8aa3b, v9, -v31
	v_rndne_f32_e32 v40, v31
	v_dual_fmac_f32 v45, 0x32a5705f, v15 :: v_dual_sub_f32 v34, v34, v46
	v_sub_f32_e32 v17, v17, v6
	s_delay_alu instid0(VALU_DEP_4) | instskip(NEXT) | instid1(VALU_DEP_4)
	v_fmac_f32_e32 v39, 0x32a5705f, v9
	v_sub_f32_e32 v31, v31, v40
	v_cvt_i32_f32_e32 v40, v40
	v_add_f32_e32 v34, v34, v45
	v_ldexp_f32 v32, v32, v42
	v_ldexp_f32 v33, v33, v44
	v_add_f32_e32 v31, v31, v39
	v_cvt_i32_f32_e32 v46, v46
	v_exp_f32_e32 v34, v34
	v_cmp_ngt_f32_e64 s0, 0xc2ce8ed0, v15
	v_fmac_f32_e32 v49, 0x32a5705f, v19
	v_exp_f32_e32 v31, v31
	v_sub_f32_e32 v36, v36, v50
	v_cvt_i32_f32_e32 v50, v50
	v_cmp_ngt_f32_e64 s1, 0xc2ce8ed0, v17
	v_rndne_f32_e32 v54, v38
	s_delay_alu instid0(VALU_DEP_4) | instskip(NEXT) | instid1(TRANS32_DEP_2)
	v_add_f32_e32 v36, v36, v49
	v_ldexp_f32 v34, v34, v46
	v_cmp_ngt_f32_e64 s2, 0xc2ce8ed0, v19
	s_delay_alu instid0(TRANS32_DEP_1) | instskip(NEXT) | instid1(VALU_DEP_4)
	v_ldexp_f32 v31, v31, v40
	v_exp_f32_e32 v36, v36
	s_delay_alu instid0(VALU_DEP_1) | instskip(SKIP_1) | instid1(VALU_DEP_1)
	v_cndmask_b32_e64 v31, 0, v31, s5
	v_cmp_ngt_f32_e64 s5, 0xc2ce8ed0, v11
	v_cndmask_b32_e64 v32, 0, v32, s5
	v_cmp_nlt_f32_e64 s5, 0x42b17218, v9
	s_waitcnt_depctr 0xfff
	v_ldexp_f32 v36, v36, v50
	v_cndmask_b32_e64 v9, 0x7f800000, v31, s5
	v_cndmask_b32_e32 v31, 0, v33, vcc_lo
	v_cmp_nlt_f32_e32 vcc_lo, 0x42b17218, v11
	s_delay_alu instid0(VALU_DEP_3) | instskip(SKIP_1) | instid1(VALU_DEP_2)
	v_dual_fmac_f32 v8, v9, v10 :: v_dual_cndmask_b32 v11, 0x7f800000, v32
	v_cmp_nlt_f32_e32 vcc_lo, 0x42b17218, v13
	v_fmac_f32_e32 v8, v11, v12
	v_cndmask_b32_e32 v10, 0x7f800000, v31, vcc_lo
	v_cmp_nlt_f32_e32 vcc_lo, 0x42b17218, v15
	v_fma_f32 v53, 0x3fb8aa3b, v23, -v38
	v_sub_f32_e32 v38, v38, v54
	v_cvt_i32_f32_e32 v54, v54
	v_fmac_f32_e32 v8, v10, v14
	v_cmp_ngt_f32_e64 s4, 0xc2ce8ed0, v23
	v_fmac_f32_e32 v53, 0x32a5705f, v23
	s_delay_alu instid0(VALU_DEP_1) | instskip(NEXT) | instid1(VALU_DEP_1)
	v_dual_sub_f32 v21, v21, v6 :: v_dual_add_f32 v38, v38, v53
	v_cmp_ngt_f32_e64 s3, 0xc2ce8ed0, v21
	s_delay_alu instid0(VALU_DEP_2)
	v_exp_f32_e32 v38, v38
	s_waitcnt_depctr 0xfff
	v_ldexp_f32 v38, v38, v54
	s_waitcnt vmcnt(7)
	v_fmac_f32_e32 v7, v25, v9
	v_cndmask_b32_e64 v9, 0, v34, s0
	s_delay_alu instid0(VALU_DEP_1) | instskip(SKIP_1) | instid1(VALU_DEP_3)
	v_cndmask_b32_e32 v9, 0x7f800000, v9, vcc_lo
	s_waitcnt vmcnt(6)
	v_fmac_f32_e32 v7, v26, v11
	v_cmp_nlt_f32_e32 vcc_lo, 0x42b17218, v17
	s_delay_alu instid0(VALU_DEP_3) | instskip(SKIP_1) | instid1(VALU_DEP_3)
	v_dual_fmac_f32 v8, v9, v16 :: v_dual_mul_f32 v35, 0x3fb8aa3b, v17
	s_waitcnt vmcnt(5)
	v_fmac_f32_e32 v7, v27, v10
	s_delay_alu instid0(VALU_DEP_2) | instskip(SKIP_2) | instid1(VALU_DEP_3)
	v_fma_f32 v47, 0x3fb8aa3b, v17, -v35
	v_rndne_f32_e32 v48, v35
	v_cndmask_b32_e64 v10, 0, v36, s2
	v_fmac_f32_e32 v47, 0x32a5705f, v17
	s_delay_alu instid0(VALU_DEP_3) | instskip(SKIP_1) | instid1(VALU_DEP_2)
	v_sub_f32_e32 v35, v35, v48
	v_cvt_i32_f32_e32 v48, v48
	v_add_f32_e32 v35, v35, v47
	s_waitcnt vmcnt(4)
	v_fmac_f32_e32 v7, v28, v9
	s_delay_alu instid0(VALU_DEP_2) | instskip(SKIP_2) | instid1(VALU_DEP_1)
	v_exp_f32_e32 v35, v35
	s_waitcnt_depctr 0xfff
	v_ldexp_f32 v35, v35, v48
	v_cndmask_b32_e64 v11, 0, v35, s1
	s_delay_alu instid0(VALU_DEP_1) | instskip(SKIP_1) | instid1(VALU_DEP_2)
	v_cndmask_b32_e32 v11, 0x7f800000, v11, vcc_lo
	v_cmp_nlt_f32_e32 vcc_lo, 0x42b17218, v19
	v_fmac_f32_e32 v8, v11, v18
	v_cndmask_b32_e32 v10, 0x7f800000, v10, vcc_lo
	v_mul_f32_e32 v37, 0x3fb8aa3b, v21
	s_waitcnt vmcnt(3)
	v_fmac_f32_e32 v7, v29, v11
	v_cmp_nlt_f32_e32 vcc_lo, 0x42b17218, v21
	v_cndmask_b32_e64 v11, 0, v38, s4
	v_fmac_f32_e32 v8, v10, v20
	v_fma_f32 v51, 0x3fb8aa3b, v21, -v37
	v_rndne_f32_e32 v52, v37
	s_waitcnt vmcnt(2)
	v_fmac_f32_e32 v7, v30, v10
	s_delay_alu instid0(VALU_DEP_3) | instskip(NEXT) | instid1(VALU_DEP_3)
	v_fmac_f32_e32 v51, 0x32a5705f, v21
	v_sub_f32_e32 v37, v37, v52
	v_cvt_i32_f32_e32 v52, v52
	s_delay_alu instid0(VALU_DEP_2) | instskip(NEXT) | instid1(VALU_DEP_1)
	v_add_f32_e32 v37, v37, v51
	v_exp_f32_e32 v37, v37
	s_waitcnt_depctr 0xfff
	v_ldexp_f32 v37, v37, v52
	s_delay_alu instid0(VALU_DEP_1) | instskip(NEXT) | instid1(VALU_DEP_1)
	v_cndmask_b32_e64 v9, 0, v37, s3
	v_cndmask_b32_e32 v9, 0x7f800000, v9, vcc_lo
	v_cmp_nlt_f32_e32 vcc_lo, 0x42b17218, v23
	s_delay_alu instid0(VALU_DEP_2) | instskip(SKIP_3) | instid1(VALU_DEP_1)
	v_fmac_f32_e32 v8, v9, v22
	s_waitcnt vmcnt(1)
	v_dual_cndmask_b32 v10, 0x7f800000, v11 :: v_dual_fmac_f32 v7, v2, v9
	s_waitcnt vmcnt(0)
	v_dual_fmac_f32 v8, v10, v24 :: v_dual_fmac_f32 v7, v3, v10
	s_cbranch_scc0 .LBB4_14
; %bb.15:
	s_and_b32 s0, s11, 7
	s_delay_alu instid0(SALU_CYCLE_1)
	s_cmp_eq_u32 s0, 0
	s_cbranch_scc0 .LBB4_18
	s_branch .LBB4_20
.LBB4_16:
	v_mov_b32_e32 v0, 0x7fc00000
	s_branch .LBB4_21
.LBB4_17:
	v_mov_b32_e32 v8, 0
	s_mov_b32 s12, 0
	s_and_b32 s0, s11, 7
	s_delay_alu instid0(SALU_CYCLE_1)
	s_cmp_eq_u32 s0, 0
	s_cbranch_scc1 .LBB4_20
.LBB4_18:
	v_lshl_or_b32 v0, s12, 8, v0
	v_mov_b32_e32 v1, 0
	s_lshl_b32 s1, s12, 3
	s_delay_alu instid0(SALU_CYCLE_1)
	s_add_i32 s1, s1, 0
	s_set_inst_prefetch_distance 0x1
	.p2align	6
.LBB4_19:                               ; =>This Inner Loop Header: Depth=1
	s_delay_alu instid0(VALU_DEP_1) | instskip(SKIP_2) | instid1(VALU_DEP_2)
	v_lshlrev_b64 v[2:3], 2, v[0:1]
	s_add_i32 s0, s0, -1
	v_add_nc_u32_e32 v0, 0x100, v0
	v_add_co_u32 v2, vcc_lo, s6, v2
	s_delay_alu instid0(VALU_DEP_3)
	v_add_co_ci_u32_e32 v3, vcc_lo, s7, v3, vcc_lo
	global_load_b32 v4, v[2:3], off
	v_mov_b32_e32 v2, s1
	s_add_i32 s1, s1, 8
	s_cmp_lg_u32 s0, 0
	ds_load_b64 v[2:3], v2
	s_waitcnt lgkmcnt(0)
	v_sub_f32_e32 v2, v2, v6
	s_delay_alu instid0(VALU_DEP_1) | instskip(SKIP_1) | instid1(VALU_DEP_2)
	v_mul_f32_e32 v9, 0x3fb8aa3b, v2
	v_cmp_ngt_f32_e32 vcc_lo, 0xc2ce8ed0, v2
	v_fma_f32 v10, 0x3fb8aa3b, v2, -v9
	v_rndne_f32_e32 v11, v9
	s_delay_alu instid0(VALU_DEP_1) | instskip(NEXT) | instid1(VALU_DEP_1)
	v_dual_fmac_f32 v10, 0x32a5705f, v2 :: v_dual_sub_f32 v9, v9, v11
	v_add_f32_e32 v9, v9, v10
	v_cvt_i32_f32_e32 v10, v11
	s_delay_alu instid0(VALU_DEP_2) | instskip(SKIP_2) | instid1(VALU_DEP_1)
	v_exp_f32_e32 v9, v9
	s_waitcnt_depctr 0xfff
	v_ldexp_f32 v9, v9, v10
	v_cndmask_b32_e32 v9, 0, v9, vcc_lo
	v_cmp_nlt_f32_e32 vcc_lo, 0x42b17218, v2
	s_delay_alu instid0(VALU_DEP_2) | instskip(SKIP_1) | instid1(VALU_DEP_1)
	v_cndmask_b32_e32 v2, 0x7f800000, v9, vcc_lo
	s_waitcnt vmcnt(0)
	v_dual_fmac_f32 v8, v2, v3 :: v_dual_fmac_f32 v7, v4, v2
	s_cbranch_scc1 .LBB4_19
.LBB4_20:
	s_set_inst_prefetch_distance 0x2
	s_delay_alu instid0(VALU_DEP_1) | instskip(NEXT) | instid1(VALU_DEP_1)
	v_div_scale_f32 v0, null, v8, v8, v7
	v_rcp_f32_e32 v1, v0
	s_waitcnt_depctr 0xfff
	v_fma_f32 v2, -v0, v1, 1.0
	s_delay_alu instid0(VALU_DEP_1) | instskip(SKIP_1) | instid1(VALU_DEP_1)
	v_fmac_f32_e32 v1, v2, v1
	v_div_scale_f32 v2, vcc_lo, v7, v8, v7
	v_mul_f32_e32 v3, v2, v1
	s_delay_alu instid0(VALU_DEP_1) | instskip(NEXT) | instid1(VALU_DEP_1)
	v_fma_f32 v4, -v0, v3, v2
	v_fmac_f32_e32 v3, v4, v1
	s_delay_alu instid0(VALU_DEP_1) | instskip(NEXT) | instid1(VALU_DEP_1)
	v_fma_f32 v0, -v0, v3, v2
	v_div_fmas_f32 v0, v0, v1, v3
	s_delay_alu instid0(VALU_DEP_1)
	v_div_fixup_f32 v0, v0, v8, v7
.LBB4_21:
	s_lshl_b32 s0, s10, 8
	s_delay_alu instid0(SALU_CYCLE_1) | instskip(NEXT) | instid1(SALU_CYCLE_1)
	s_ashr_i32 s1, s0, 31
	s_lshl_b64 s[0:1], s[0:1], 2
	s_delay_alu instid0(SALU_CYCLE_1)
	s_add_u32 s0, s8, s0
	s_addc_u32 s1, s9, s1
	global_store_b32 v5, v0, s[0:1]
	s_nop 0
	s_sendmsg sendmsg(MSG_DEALLOC_VGPRS)
	s_endpgm
	.section	.rodata,"a",@progbits
	.p2align	6, 0x0
	.amdhsa_kernel _ZL26flash_attn_combine_resultsILi256EEvPKfPK15HIP_vector_typeIfLj2EEPfi
		.amdhsa_group_segment_fixed_size 0
		.amdhsa_private_segment_fixed_size 0
		.amdhsa_kernarg_size 288
		.amdhsa_user_sgpr_count 13
		.amdhsa_user_sgpr_dispatch_ptr 0
		.amdhsa_user_sgpr_queue_ptr 0
		.amdhsa_user_sgpr_kernarg_segment_ptr 1
		.amdhsa_user_sgpr_dispatch_id 0
		.amdhsa_user_sgpr_private_segment_size 0
		.amdhsa_wavefront_size32 1
		.amdhsa_uses_dynamic_stack 0
		.amdhsa_enable_private_segment 0
		.amdhsa_system_sgpr_workgroup_id_x 1
		.amdhsa_system_sgpr_workgroup_id_y 1
		.amdhsa_system_sgpr_workgroup_id_z 1
		.amdhsa_system_sgpr_workgroup_info 0
		.amdhsa_system_vgpr_workitem_id 0
		.amdhsa_next_free_vgpr 55
		.amdhsa_next_free_sgpr 16
		.amdhsa_reserve_vcc 1
		.amdhsa_float_round_mode_32 0
		.amdhsa_float_round_mode_16_64 0
		.amdhsa_float_denorm_mode_32 3
		.amdhsa_float_denorm_mode_16_64 3
		.amdhsa_dx10_clamp 1
		.amdhsa_ieee_mode 1
		.amdhsa_fp16_overflow 0
		.amdhsa_workgroup_processor_mode 1
		.amdhsa_memory_ordered 1
		.amdhsa_forward_progress 0
		.amdhsa_shared_vgpr_count 0
		.amdhsa_exception_fp_ieee_invalid_op 0
		.amdhsa_exception_fp_denorm_src 0
		.amdhsa_exception_fp_ieee_div_zero 0
		.amdhsa_exception_fp_ieee_overflow 0
		.amdhsa_exception_fp_ieee_underflow 0
		.amdhsa_exception_fp_ieee_inexact 0
		.amdhsa_exception_int_div_zero 0
	.end_amdhsa_kernel
	.section	.text._ZL26flash_attn_combine_resultsILi256EEvPKfPK15HIP_vector_typeIfLj2EEPfi,"axG",@progbits,_ZL26flash_attn_combine_resultsILi256EEvPKfPK15HIP_vector_typeIfLj2EEPfi,comdat
.Lfunc_end4:
	.size	_ZL26flash_attn_combine_resultsILi256EEvPKfPK15HIP_vector_typeIfLj2EEPfi, .Lfunc_end4-_ZL26flash_attn_combine_resultsILi256EEvPKfPK15HIP_vector_typeIfLj2EEPfi
                                        ; -- End function
	.section	.AMDGPU.csdata,"",@progbits
; Kernel info:
; codeLenInByte = 2352
; NumSgprs: 18
; NumVgprs: 55
; ScratchSize: 0
; MemoryBound: 0
; FloatMode: 240
; IeeeMode: 1
; LDSByteSize: 0 bytes/workgroup (compile time only)
; SGPRBlocks: 2
; VGPRBlocks: 6
; NumSGPRsForWavesPerEU: 18
; NumVGPRsForWavesPerEU: 55
; Occupancy: 16
; WaveLimiterHint : 0
; COMPUTE_PGM_RSRC2:SCRATCH_EN: 0
; COMPUTE_PGM_RSRC2:USER_SGPR: 13
; COMPUTE_PGM_RSRC2:TRAP_HANDLER: 0
; COMPUTE_PGM_RSRC2:TGID_X_EN: 1
; COMPUTE_PGM_RSRC2:TGID_Y_EN: 1
; COMPUTE_PGM_RSRC2:TGID_Z_EN: 1
; COMPUTE_PGM_RSRC2:TIDIG_COMP_CNT: 0
	.section	.text._ZL15flash_attn_tileILi320ELi256ELi1ELi32ELb1EEvPKcS1_S1_S1_S1_PKiPfP15HIP_vector_typeIfLj2EEffffjfiS5_IjLj3EEiiiiiiiiiiiliiliiiiil,"axG",@progbits,_ZL15flash_attn_tileILi320ELi256ELi1ELi32ELb1EEvPKcS1_S1_S1_S1_PKiPfP15HIP_vector_typeIfLj2EEffffjfiS5_IjLj3EEiiiiiiiiiiiliiliiiiil,comdat
	.globl	_ZL15flash_attn_tileILi320ELi256ELi1ELi32ELb1EEvPKcS1_S1_S1_S1_PKiPfP15HIP_vector_typeIfLj2EEffffjfiS5_IjLj3EEiiiiiiiiiiiliiliiiiil ; -- Begin function _ZL15flash_attn_tileILi320ELi256ELi1ELi32ELb1EEvPKcS1_S1_S1_S1_PKiPfP15HIP_vector_typeIfLj2EEffffjfiS5_IjLj3EEiiiiiiiiiiiliiliiiiil
	.p2align	8
	.type	_ZL15flash_attn_tileILi320ELi256ELi1ELi32ELb1EEvPKcS1_S1_S1_S1_PKiPfP15HIP_vector_typeIfLj2EEffffjfiS5_IjLj3EEiiiiiiiiiiiliiliiiiil,@function
_ZL15flash_attn_tileILi320ELi256ELi1ELi32ELb1EEvPKcS1_S1_S1_S1_PKiPfP15HIP_vector_typeIfLj2EEffffjfiS5_IjLj3EEiiiiiiiiiiiliiliiiiil: ; @_ZL15flash_attn_tileILi320ELi256ELi1ELi32ELb1EEvPKcS1_S1_S1_S1_PKiPfP15HIP_vector_typeIfLj2EEffffjfiS5_IjLj3EEiiiiiiiiiiiliiliiiiil
; %bb.0:
	s_clause 0x1
	s_load_b128 s[4:7], s[0:1], 0x5c
	s_load_b64 s[34:35], s[0:1], 0x80
	s_mov_b64 s[36:37], 0
	s_waitcnt lgkmcnt(0)
	s_ashr_i32 s2, s7, 31
	s_delay_alu instid0(SALU_CYCLE_1) | instskip(NEXT) | instid1(SALU_CYCLE_1)
	s_lshr_b32 s2, s2, 27
	s_add_i32 s2, s7, s2
	s_delay_alu instid0(SALU_CYCLE_1) | instskip(NEXT) | instid1(SALU_CYCLE_1)
	s_ashr_i32 s2, s2, 5
	v_cvt_f32_u32_e32 v1, s2
	s_sub_i32 s8, 0, s2
	s_delay_alu instid0(VALU_DEP_1) | instskip(SKIP_2) | instid1(VALU_DEP_1)
	v_rcp_iflag_f32_e32 v1, v1
	s_waitcnt_depctr 0xfff
	v_mul_f32_e32 v1, 0x4f7ffffe, v1
	v_cvt_u32_f32_e32 v1, v1
	s_delay_alu instid0(VALU_DEP_1) | instskip(NEXT) | instid1(VALU_DEP_1)
	v_readfirstlane_b32 s3, v1
	s_mul_i32 s8, s8, s3
	s_delay_alu instid0(SALU_CYCLE_1) | instskip(NEXT) | instid1(SALU_CYCLE_1)
	s_mul_hi_u32 s8, s3, s8
	s_add_i32 s3, s3, s8
	s_delay_alu instid0(SALU_CYCLE_1) | instskip(NEXT) | instid1(SALU_CYCLE_1)
	s_mul_hi_u32 s3, s15, s3
	s_mul_i32 s8, s3, s2
	s_add_i32 s9, s3, 1
	s_sub_i32 s8, s15, s8
	s_delay_alu instid0(SALU_CYCLE_1)
	s_sub_i32 s10, s8, s2
	s_cmp_ge_u32 s8, s2
	s_cselect_b32 s3, s9, s3
	s_cselect_b32 s8, s10, s8
	s_add_i32 s9, s3, 1
	s_cmp_ge_u32 s8, s2
	s_cselect_b32 s12, s9, s3
	s_abs_i32 s2, s35
	s_abs_i32 s11, s7
	v_cvt_f32_u32_e32 v1, s2
	s_sub_i32 s8, 0, s2
	s_lshl_b32 s9, s15, 5
	s_mul_i32 s10, s12, s7
	s_delay_alu instid0(VALU_DEP_1) | instskip(SKIP_3) | instid1(VALU_DEP_1)
	v_rcp_iflag_f32_e32 v1, v1
	s_sub_i32 s15, s9, s10
	s_waitcnt_depctr 0xfff
	v_mul_f32_e32 v1, 0x4f7ffffe, v1
	v_cvt_u32_f32_e32 v1, v1
	s_delay_alu instid0(VALU_DEP_1) | instskip(NEXT) | instid1(VALU_DEP_1)
	v_readfirstlane_b32 s3, v1
	s_mul_i32 s8, s8, s3
	s_delay_alu instid0(SALU_CYCLE_1) | instskip(NEXT) | instid1(SALU_CYCLE_1)
	s_mul_hi_u32 s8, s3, s8
	s_add_i32 s3, s3, s8
	s_xor_b32 s8, s7, s35
	s_mul_hi_u32 s3, s11, s3
	s_ashr_i32 s8, s8, 31
	s_mul_i32 s9, s3, s2
	s_add_i32 s10, s3, 1
	s_sub_i32 s9, s11, s9
	s_delay_alu instid0(SALU_CYCLE_1)
	s_sub_i32 s11, s9, s2
	s_cmp_ge_u32 s9, s2
	s_cselect_b32 s3, s10, s3
	s_cselect_b32 s9, s11, s9
	s_add_i32 s10, s3, 1
	s_cmp_ge_u32 s9, s2
	s_cselect_b32 s2, s10, s3
	s_delay_alu instid0(SALU_CYCLE_1) | instskip(NEXT) | instid1(SALU_CYCLE_1)
	s_xor_b32 s2, s2, s8
	s_sub_i32 s35, s2, s8
	s_clause 0x1
	s_load_b512 s[16:31], s[0:1], 0x0
	s_load_b64 s[2:3], s[0:1], 0xb8
	s_abs_i32 s33, s35
	s_delay_alu instid0(SALU_CYCLE_1) | instskip(NEXT) | instid1(VALU_DEP_1)
	v_cvt_f32_u32_e32 v1, s33
	v_rcp_iflag_f32_e32 v1, v1
	s_waitcnt_depctr 0xfff
	v_mul_f32_e32 v1, 0x4f7ffffe, v1
	s_waitcnt lgkmcnt(0)
	s_cmp_eq_u64 s[22:23], 0
	s_delay_alu instid0(VALU_DEP_1) | instskip(NEXT) | instid1(VALU_DEP_1)
	v_cvt_u32_f32_e32 v1, v1
	v_readfirstlane_b32 s38, v1
	s_cbranch_scc1 .LBB5_2
; %bb.1:
	s_abs_i32 s2, s2
	s_abs_i32 s10, s12
	v_cvt_f32_u32_e32 v1, s2
	s_sub_i32 s9, 0, s2
	s_delay_alu instid0(VALU_DEP_1) | instskip(SKIP_2) | instid1(VALU_DEP_1)
	v_rcp_iflag_f32_e32 v1, v1
	s_waitcnt_depctr 0xfff
	v_mul_f32_e32 v1, 0x4f7ffffe, v1
	v_cvt_u32_f32_e32 v1, v1
	s_delay_alu instid0(VALU_DEP_1) | instskip(NEXT) | instid1(VALU_DEP_1)
	v_readfirstlane_b32 s8, v1
	s_mul_i32 s9, s9, s8
	s_delay_alu instid0(SALU_CYCLE_1) | instskip(NEXT) | instid1(SALU_CYCLE_1)
	s_mul_hi_u32 s9, s8, s9
	s_add_i32 s11, s8, s9
	s_load_b64 s[8:9], s[0:1], 0xc8
	s_mul_hi_u32 s11, s10, s11
	s_delay_alu instid0(SALU_CYCLE_1) | instskip(NEXT) | instid1(SALU_CYCLE_1)
	s_mul_i32 s11, s11, s2
	s_sub_i32 s10, s10, s11
	s_ashr_i32 s11, s12, 31
	s_sub_i32 s36, s10, s2
	s_cmp_ge_u32 s10, s2
	s_cselect_b32 s10, s36, s10
	s_delay_alu instid0(SALU_CYCLE_1) | instskip(SKIP_2) | instid1(SALU_CYCLE_1)
	s_sub_i32 s36, s10, s2
	s_cmp_ge_u32 s10, s2
	s_cselect_b32 s2, s36, s10
	s_xor_b32 s2, s2, s11
	s_delay_alu instid0(SALU_CYCLE_1)
	s_sub_i32 s2, s2, s11
	s_waitcnt lgkmcnt(0)
	s_mul_i32 s9, s2, s9
	s_mul_hi_u32 s10, s2, s8
	s_ashr_i32 s11, s2, 31
	s_add_i32 s9, s10, s9
	s_mul_i32 s11, s11, s8
	s_mul_i32 s2, s2, s8
	s_add_i32 s9, s9, s11
	s_add_u32 s36, s22, s2
	s_addc_u32 s37, s23, s9
.LBB5_2:
	v_bfe_u32 v4, v0, 10, 10
	s_load_b128 s[8:11], s[0:1], 0x70
	v_and_b32_e32 v13, 0x3ff, v0
	s_delay_alu instid0(VALU_DEP_2) | instskip(SKIP_2) | instid1(VALU_DEP_3)
	v_lshrrev_b32_e32 v1, 3, v4
	v_lshlrev_b32_e32 v6, 2, v4
	v_mul_u32_u24_e32 v22, 0x280, v4
	v_add_nc_u32_e32 v12, s13, v1
	s_delay_alu instid0(VALU_DEP_3) | instskip(NEXT) | instid1(VALU_DEP_2)
	v_and_b32_e32 v32, 28, v6
	v_mul_hi_u32 v1, s4, v12
	s_waitcnt lgkmcnt(0)
	s_mul_i32 s2, s12, s10
	s_mul_i32 s4, s15, s9
	s_delay_alu instid0(VALU_DEP_1) | instskip(NEXT) | instid1(VALU_DEP_1)
	v_add_nc_u32_e32 v1, v12, v1
	v_lshrrev_b32_e32 v1, s5, v1
	s_ashr_i32 s5, s2, 31
	s_add_u32 s2, s16, s2
	s_addc_u32 s5, s17, s5
	s_ashr_i32 s10, s4, 31
	v_mul_lo_u32 v1, v1, s6
	s_add_u32 s2, s2, s4
	s_addc_u32 s4, s5, s10
	s_ashr_i32 s10, s8, 31
	s_ashr_i32 s5, s9, 31
	v_alignbit_b32 v3, s10, s8, 2
	s_lshr_b32 s8, s10, 2
	s_delay_alu instid0(VALU_DEP_2) | instskip(NEXT) | instid1(VALU_DEP_1)
	v_sub_nc_u32_e32 v5, v12, v1
	v_mad_u64_u32 v[1:2], null, v3, v5, 0
	v_alignbit_b32 v3, s5, s9, 2
	s_delay_alu instid0(VALU_DEP_1) | instskip(NEXT) | instid1(VALU_DEP_3)
	v_mad_u64_u32 v[7:8], null, v3, v32, 0
	v_mad_u64_u32 v[9:10], null, s8, v5, v[2:3]
	s_lshr_b32 s8, s5, 2
	s_delay_alu instid0(VALU_DEP_1) | instskip(NEXT) | instid1(VALU_DEP_1)
	v_dual_mov_b32 v3, v8 :: v_dual_mov_b32 v2, v9
	v_mad_u64_u32 v[8:9], null, s8, v32, v[3:4]
	s_delay_alu instid0(VALU_DEP_2) | instskip(SKIP_2) | instid1(VALU_DEP_2)
	v_lshlrev_b64 v[0:1], 2, v[1:2]
	v_lshlrev_b32_e32 v2, 4, v13
	s_load_b32 s8, s[0:1], 0x40
	v_add_co_u32 v3, vcc_lo, s2, v0
	s_delay_alu instid0(VALU_DEP_3) | instskip(SKIP_1) | instid1(VALU_DEP_3)
	v_add_co_ci_u32_e32 v9, vcc_lo, s4, v1, vcc_lo
	v_lshlrev_b64 v[0:1], 2, v[7:8]
	v_add_co_u32 v2, vcc_lo, v3, v2
	s_delay_alu instid0(VALU_DEP_3) | instskip(SKIP_1) | instid1(VALU_DEP_3)
	v_add_co_ci_u32_e32 v3, vcc_lo, 0, v9, vcc_lo
	v_lshlrev_b32_e32 v7, 1, v13
	v_add_co_u32 v0, vcc_lo, v2, v0
	s_delay_alu instid0(VALU_DEP_3)
	v_add_co_ci_u32_e32 v1, vcc_lo, v3, v1, vcc_lo
	v_cmp_gt_u32_e32 vcc_lo, 16, v13
	s_mov_b32 s4, s9
	s_clause 0x1
	global_load_b128 v[8:11], v[0:1], off
	global_load_b128 v[14:17], v[0:1], off offset:512
	s_lshr_b64 s[4:5], s[4:5], 2
	s_waitcnt vmcnt(1) lgkmcnt(0)
	v_fma_mixlo_f16 v19, v10, s8, 0
	v_fma_mixlo_f16 v18, v8, s8, 0
	s_waitcnt vmcnt(0)
	v_fma_mixlo_f16 v21, v16, s8, 0
	v_fma_mixlo_f16 v20, v14, s8, 0
	v_add_lshl_u32 v8, v22, v7, 2
	v_fma_mixhi_f16 v19, v11, s8, 0
	v_fma_mixhi_f16 v18, v9, s8, 0
	;; [unrolled: 1-line block ×4, first 2 shown]
	ds_store_2addr_b64 v8, v[18:19], v[20:21] offset1:32
	s_and_saveexec_b32 s2, vcc_lo
	s_cbranch_execz .LBB5_4
; %bb.3:
	global_load_b128 v[14:17], v[0:1], off offset:1024
	s_waitcnt vmcnt(0)
	v_fma_mixlo_f16 v1, v16, s8, 0
	v_fma_mixlo_f16 v0, v14, s8, 0
	s_delay_alu instid0(VALU_DEP_2) | instskip(NEXT) | instid1(VALU_DEP_2)
	v_fma_mixhi_f16 v1, v17, s8, 0
	v_fma_mixhi_f16 v0, v15, s8, 0
	ds_store_b64 v8, v[0:1] offset:512
.LBB5_4:
	s_or_b32 exec_lo, exec_lo, s2
	v_or_b32_e32 v18, 1, v6
	s_delay_alu instid0(VALU_DEP_1) | instskip(SKIP_1) | instid1(VALU_DEP_2)
	v_and_b32_e32 v10, 29, v18
	v_mul_u32_u24_e32 v22, 0xa0, v18
	v_mad_u64_u32 v[0:1], null, s4, v10, 0
	s_delay_alu instid0(VALU_DEP_2) | instskip(NEXT) | instid1(VALU_DEP_2)
	v_add_lshl_u32 v7, v22, v7, 2
	v_mad_u64_u32 v[8:9], null, s5, v10, v[1:2]
	s_delay_alu instid0(VALU_DEP_1) | instskip(NEXT) | instid1(VALU_DEP_1)
	v_mov_b32_e32 v1, v8
	v_lshlrev_b64 v[0:1], 2, v[0:1]
	s_delay_alu instid0(VALU_DEP_1) | instskip(NEXT) | instid1(VALU_DEP_1)
	v_add_co_u32 v0, s2, v2, v0
	v_add_co_ci_u32_e64 v1, s2, v3, v1, s2
	s_clause 0x1
	global_load_b128 v[8:11], v[0:1], off
	global_load_b128 v[14:17], v[0:1], off offset:512
	s_waitcnt vmcnt(1)
	v_fma_mixlo_f16 v19, v10, s8, 0
	v_fma_mixlo_f16 v18, v8, s8, 0
	s_waitcnt vmcnt(0)
	v_fma_mixlo_f16 v21, v16, s8, 0
	v_fma_mixlo_f16 v20, v14, s8, 0
	v_fma_mixhi_f16 v19, v11, s8, 0
	v_fma_mixhi_f16 v18, v9, s8, 0
	s_delay_alu instid0(VALU_DEP_4) | instskip(NEXT) | instid1(VALU_DEP_4)
	v_fma_mixhi_f16 v21, v17, s8, 0
	v_fma_mixhi_f16 v20, v15, s8, 0
	ds_store_2addr_b64 v7, v[18:19], v[20:21] offset1:32
	s_and_saveexec_b32 s2, vcc_lo
	s_cbranch_execz .LBB5_6
; %bb.5:
	global_load_b128 v[8:11], v[0:1], off offset:1024
	s_waitcnt vmcnt(0)
	v_fma_mixlo_f16 v1, v10, s8, 0
	v_fma_mixlo_f16 v0, v8, s8, 0
	s_delay_alu instid0(VALU_DEP_2) | instskip(NEXT) | instid1(VALU_DEP_2)
	v_fma_mixhi_f16 v1, v11, s8, 0
	v_fma_mixhi_f16 v0, v9, s8, 0
	ds_store_b64 v7, v[0:1] offset:512
.LBB5_6:
	s_or_b32 exec_lo, exec_lo, s2
	v_or_b32_e32 v0, 2, v6
	s_delay_alu instid0(VALU_DEP_1) | instskip(NEXT) | instid1(VALU_DEP_1)
	v_and_b32_e32 v10, 30, v0
	v_mad_u64_u32 v[0:1], null, s4, v10, 0
	s_delay_alu instid0(VALU_DEP_1) | instskip(NEXT) | instid1(VALU_DEP_1)
	v_mad_u64_u32 v[8:9], null, s5, v10, v[1:2]
	v_mov_b32_e32 v1, v8
	s_delay_alu instid0(VALU_DEP_1) | instskip(NEXT) | instid1(VALU_DEP_1)
	v_lshlrev_b64 v[0:1], 2, v[0:1]
	v_add_co_u32 v0, s2, v2, v0
	s_delay_alu instid0(VALU_DEP_1)
	v_add_co_ci_u32_e64 v1, s2, v3, v1, s2
	s_clause 0x1
	global_load_b128 v[8:11], v[0:1], off
	global_load_b128 v[14:17], v[0:1], off offset:512
	s_waitcnt vmcnt(1)
	v_fma_mixlo_f16 v19, v10, s8, 0
	v_fma_mixlo_f16 v18, v8, s8, 0
	s_waitcnt vmcnt(0)
	v_fma_mixlo_f16 v21, v16, s8, 0
	v_fma_mixlo_f16 v20, v14, s8, 0
	v_fma_mixhi_f16 v19, v11, s8, 0
	v_fma_mixhi_f16 v18, v9, s8, 0
	s_delay_alu instid0(VALU_DEP_4) | instskip(NEXT) | instid1(VALU_DEP_4)
	v_fma_mixhi_f16 v21, v17, s8, 0
	v_fma_mixhi_f16 v20, v15, s8, 0
	ds_store_2addr_b64 v7, v[18:19], v[20:21] offset0:80 offset1:112
	s_and_saveexec_b32 s2, vcc_lo
	s_cbranch_execz .LBB5_8
; %bb.7:
	global_load_b128 v[8:11], v[0:1], off offset:1024
	s_waitcnt vmcnt(0)
	v_fma_mixlo_f16 v1, v10, s8, 0
	v_fma_mixlo_f16 v0, v8, s8, 0
	s_delay_alu instid0(VALU_DEP_2) | instskip(NEXT) | instid1(VALU_DEP_2)
	v_fma_mixhi_f16 v1, v11, s8, 0
	v_fma_mixhi_f16 v0, v9, s8, 0
	ds_store_b64 v7, v[0:1] offset:1152
.LBB5_8:
	s_or_b32 exec_lo, exec_lo, s2
	v_or_b32_e32 v0, 3, v6
	s_delay_alu instid0(VALU_DEP_1) | instskip(NEXT) | instid1(VALU_DEP_1)
	v_and_b32_e32 v10, 31, v0
	v_mad_u64_u32 v[0:1], null, s4, v10, 0
	s_delay_alu instid0(VALU_DEP_1) | instskip(NEXT) | instid1(VALU_DEP_1)
	v_mad_u64_u32 v[8:9], null, s5, v10, v[1:2]
	v_mov_b32_e32 v1, v8
	s_delay_alu instid0(VALU_DEP_1) | instskip(NEXT) | instid1(VALU_DEP_1)
	v_lshlrev_b64 v[0:1], 2, v[0:1]
	v_add_co_u32 v0, s2, v2, v0
	s_delay_alu instid0(VALU_DEP_1)
	v_add_co_ci_u32_e64 v1, s2, v3, v1, s2
	s_clause 0x1
	global_load_b128 v[8:11], v[0:1], off
	global_load_b128 v[14:17], v[0:1], off offset:512
	s_waitcnt vmcnt(1)
	v_fma_mixlo_f16 v3, v10, s8, 0
	v_fma_mixlo_f16 v2, v8, s8, 0
	s_waitcnt vmcnt(0)
	v_fma_mixlo_f16 v19, v16, s8, 0
	v_fma_mixlo_f16 v18, v14, s8, 0
	v_fma_mixhi_f16 v3, v11, s8, 0
	v_fma_mixhi_f16 v2, v9, s8, 0
	s_delay_alu instid0(VALU_DEP_4) | instskip(NEXT) | instid1(VALU_DEP_4)
	v_fma_mixhi_f16 v19, v17, s8, 0
	v_fma_mixhi_f16 v18, v15, s8, 0
	ds_store_2addr_b64 v7, v[2:3], v[18:19] offset0:160 offset1:192
	s_and_saveexec_b32 s2, vcc_lo
	s_cbranch_execz .LBB5_10
; %bb.9:
	global_load_b128 v[0:3], v[0:1], off offset:1024
	s_waitcnt vmcnt(0)
	v_fma_mixlo_f16 v9, v2, s8, 0
	v_fma_mixlo_f16 v8, v0, s8, 0
	s_delay_alu instid0(VALU_DEP_2) | instskip(NEXT) | instid1(VALU_DEP_2)
	v_fma_mixhi_f16 v9, v3, s8, 0
	v_fma_mixhi_f16 v8, v1, s8, 0
	ds_store_b64 v7, v[8:9] offset:1792
.LBB5_10:
	s_or_b32 exec_lo, exec_lo, s2
	s_cmp_eq_u64 s[26:27], 0
	s_waitcnt lgkmcnt(0)
	s_barrier
	buffer_gl0_inv
	s_cbranch_scc1 .LBB5_12
; %bb.11:
	s_load_b32 s2, s[0:1], 0xd0
	s_mov_b32 s5, 0
	s_waitcnt lgkmcnt(0)
	s_mul_i32 s2, s2, s12
	s_delay_alu instid0(SALU_CYCLE_1) | instskip(NEXT) | instid1(SALU_CYCLE_1)
	s_add_i32 s4, s2, s13
	s_lshl_b64 s[4:5], s[4:5], 2
	s_delay_alu instid0(SALU_CYCLE_1)
	s_add_u32 s4, s26, s4
	s_addc_u32 s5, s27, s5
	s_load_b32 s34, s[4:5], 0x0
.LBB5_12:
	v_lshlrev_b32_e32 v31, 2, v13
	v_mbcnt_lo_u32_b32 v33, -1, 0
	s_lshl_b32 s4, s14, 7
	s_waitcnt lgkmcnt(0)
	s_cmp_lt_i32 s4, s34
	s_cbranch_scc1 .LBB5_14
; %bb.13:
	v_mbcnt_lo_u32_b32 v7, -1, 0
	v_mov_b32_e32 v34, 32
	s_mov_b32 s2, 0
	s_mov_b32 s5, 0xfeffffff
	s_delay_alu instid0(VALU_DEP_2)
	v_xor_b32_e32 v85, 16, v7
	v_xor_b32_e32 v84, 8, v7
	;; [unrolled: 1-line block ×5, first 2 shown]
	s_branch .LBB5_15
.LBB5_14:
	s_mov_b32 s2, -1
                                        ; implicit-def: $sgpr5
                                        ; implicit-def: $vgpr7
                                        ; implicit-def: $vgpr34
                                        ; implicit-def: $vgpr85
                                        ; implicit-def: $vgpr84
                                        ; implicit-def: $vgpr83
                                        ; implicit-def: $vgpr82
                                        ; implicit-def: $vgpr81
.LBB5_15:
	s_delay_alu instid0(SALU_CYCLE_1) | instskip(SKIP_3) | instid1(VALU_DEP_4)
	v_cndmask_b32_e64 v0, 0, 1, s2
	v_dual_mov_b32 v3, s5 :: v_dual_mov_b32 v2, s5
	v_mov_b32_e32 v71, s2
	v_dual_mov_b32 v59, s2 :: v_dual_mov_b32 v72, s2
	v_cmp_ne_u32_e32 vcc_lo, 1, v0
	v_dual_mov_b32 v1, s5 :: v_dual_mov_b32 v70, s2
	v_dual_mov_b32 v0, s5 :: v_dual_mov_b32 v69, s2
	v_mov_b32_e32 v64, s2
	v_dual_mov_b32 v62, s2 :: v_dual_mov_b32 v63, s2
	v_dual_mov_b32 v57, s2 :: v_dual_mov_b32 v60, s2
	;; [unrolled: 1-line block ×7, first 2 shown]
	s_cbranch_vccnz .LBB5_84
; %bb.16:
	s_clause 0x1
	s_load_b128 s[8:11], s[0:1], 0x98
	s_load_b64 s[16:17], s[0:1], 0x8c
	s_sub_i32 s2, 0, s33
	s_abs_i32 s13, s15
	s_mul_i32 s2, s2, s38
	s_ashr_i32 s23, s35, 31
	s_mul_hi_u32 s2, s38, s2
	s_ashr_i32 s35, s12, 31
	s_add_i32 s38, s38, s2
	s_ashr_i32 s22, s15, 31
	s_mul_hi_u32 s27, s13, s38
	s_ashr_i32 s26, s3, 1
	s_load_b64 s[2:3], s[0:1], 0xa8
	s_mul_i32 s38, s27, s33
	v_lshrrev_b32_e32 v0, 3, v13
	v_dual_mov_b32 v68, 0xfeffffff :: v_dual_and_b32 v17, 28, v31
	v_dual_mov_b32 v34, 32 :: v_dual_lshlrev_b32 v39, 2, v31
	v_mov_b32_e32 v56, 0
	s_waitcnt lgkmcnt(0)
	s_ashr_i32 s5, s10, 2
	s_ashr_i32 s10, s16, 2
	s_mul_i32 s9, s12, s9
	s_mul_hi_u32 s16, s12, s8
	s_mul_i32 s39, s35, s8
	s_add_i32 s9, s16, s9
	s_mul_i32 s8, s12, s8
	s_add_i32 s9, s9, s39
	s_add_u32 s8, s18, s8
	s_addc_u32 s9, s19, s9
	s_sub_i32 s13, s13, s38
	s_xor_b32 s16, s22, s23
	s_add_i32 s18, s27, 1
	s_sub_i32 s19, s13, s33
	s_cmp_ge_u32 s13, s33
	v_add_nc_u32_e32 v1, v0, v6
	s_cselect_b32 s18, s18, s27
	s_cselect_b32 s13, s19, s13
	s_add_i32 s19, s18, 1
	s_cmp_ge_u32 s13, s33
	s_mul_i32 s3, s12, s3
	s_cselect_b32 s13, s19, s18
	s_mul_hi_u32 s18, s12, s2
	s_xor_b32 s13, s13, s16
	s_mul_i32 s35, s35, s2
	s_sub_i32 s13, s13, s16
	v_mul_lo_u32 v0, s10, v1
	s_mul_i32 s16, s13, s17
	s_mul_i32 s2, s12, s2
	s_ashr_i32 s17, s16, 31
	s_add_u32 s8, s8, s16
	s_addc_u32 s9, s9, s17
	s_add_i32 s3, s18, s3
	s_mul_i32 s13, s13, s11
	s_add_i32 s3, s3, s35
	s_add_u32 s2, s20, s2
	s_addc_u32 s3, s21, s3
	s_ashr_i32 s16, s13, 31
	s_add_u32 s11, s2, s13
	s_addc_u32 s13, s3, s16
	s_lshl_b32 s2, s10, 5
	v_mul_lo_u32 v10, s5, v4
	v_dual_mov_b32 v49, 0 :: v_dual_add_nc_u32 v2, s2, v0
	v_mov_b32_e32 v51, 0
	v_dual_mov_b32 v50, 0 :: v_dual_lshlrev_b32 v3, 2, v17
	s_delay_alu instid0(VALU_DEP_3)
	v_add_nc_u32_e32 v6, s2, v2
	v_mul_u32_u24_e32 v41, 0xa00, v4
	v_lshl_add_u32 v16, v4, 9, v39
	v_lshl_add_u32 v42, v4, 10, 0x9800
	v_mov_b32_e32 v58, 0
	v_dual_mov_b32 v53, 0 :: v_dual_add_nc_u32 v8, s2, v6
	s_lshl_b32 s2, s5, 3
	s_load_b32 s16, s[0:1], 0x54
	v_add_nc_u32_e32 v25, s2, v10
	v_mad_u32_u24 v9, 0x90, v1, v3
	v_mov_b32_e32 v57, 0
	v_ashrrev_i32_e32 v1, 31, v0
	v_ashrrev_i32_e32 v3, 31, v2
	v_add_nc_u32_e32 v4, s2, v25
	v_dual_mov_b32 v52, 0 :: v_dual_add_nc_u32 v35, 0x5000, v9
	v_dual_mov_b32 v55, 0 :: v_dual_add_nc_u32 v36, 0x6200, v9
	s_delay_alu instid0(VALU_DEP_3)
	v_dual_mov_b32 v64, 0 :: v_dual_add_nc_u32 v29, s2, v4
	v_dual_mov_b32 v54, 0 :: v_dual_add_nc_u32 v37, 0x7400, v9
	v_ashrrev_i32_e32 v7, 31, v6
	v_dual_mov_b32 v61, 0 :: v_dual_add_nc_u32 v38, 0x8600, v9
	v_ashrrev_i32_e32 v9, 31, v8
	v_mad_u64_u32 v[14:15], null, v5, s26, v[13:14]
	v_ashrrev_i32_e32 v11, 31, v10
	v_ashrrev_i32_e32 v26, 31, v25
	;; [unrolled: 1-line block ×4, first 2 shown]
	v_dual_mov_b32 v63, 0 :: v_dual_add_nc_u32 v44, 0x5000, v16
	v_dual_mov_b32 v62, 0 :: v_dual_add_nc_u32 v45, 0x6000, v16
	;; [unrolled: 1-line block ×3, first 2 shown]
	v_add_nc_u32_e32 v47, 0x8000, v16
	v_lshlrev_b64 v[15:16], 2, v[0:1]
	v_lshlrev_b32_e32 v48, 2, v17
	v_lshlrev_b64 v[17:18], 2, v[2:3]
	v_lshlrev_b64 v[19:20], 2, v[6:7]
	;; [unrolled: 1-line block ×4, first 2 shown]
	v_mov_b32_e32 v11, 0xfeffffff
	v_lshlrev_b64 v[25:26], 2, v[25:26]
	v_lshlrev_b64 v[27:28], 2, v[4:5]
	;; [unrolled: 1-line block ×3, first 2 shown]
	v_mul_u32_u24_e32 v40, 0x90, v13
	v_dual_mov_b32 v60, 0 :: v_dual_lshlrev_b32 v43, 3, v13
	v_dual_mov_b32 v66, 0xfeffffff :: v_dual_mov_b32 v67, 0
	v_dual_mov_b32 v10, 0xfeffffff :: v_dual_mov_b32 v65, 0
	v_dual_mov_b32 v9, 0 :: v_dual_mov_b32 v8, 0
	s_add_u32 s2, s0, 0xd0
	s_addc_u32 s3, s1, 0
	s_mov_b32 s17, 0xbbbac73d
.LBB5_17:                               ; =>This Inner Loop Header: Depth=1
	s_mul_hi_i32 s19, s4, s10
	s_mul_i32 s18, s4, s10
	v_mov_b32_e32 v81, 0
	s_lshl_b64 s[18:19], s[18:19], 2
	v_dual_mov_b32 v77, 0 :: v_dual_mov_b32 v78, 0
	s_add_u32 s18, s8, s18
	s_addc_u32 s19, s9, s19
	v_add_co_u32 v0, vcc_lo, s18, v15
	v_add_co_ci_u32_e32 v1, vcc_lo, s19, v16, vcc_lo
	v_add_co_u32 v2, vcc_lo, s18, v17
	v_add_co_ci_u32_e32 v3, vcc_lo, s19, v18, vcc_lo
	s_delay_alu instid0(VALU_DEP_4) | instskip(NEXT) | instid1(VALU_DEP_4)
	v_add_co_u32 v0, vcc_lo, v0, v48
	v_add_co_ci_u32_e32 v1, vcc_lo, 0, v1, vcc_lo
	s_delay_alu instid0(VALU_DEP_4) | instskip(NEXT) | instid1(VALU_DEP_4)
	v_add_co_u32 v2, vcc_lo, v2, v48
	v_add_co_ci_u32_e32 v3, vcc_lo, 0, v3, vcc_lo
	v_add_co_u32 v4, vcc_lo, s18, v19
	v_add_co_ci_u32_e32 v5, vcc_lo, s19, v20, vcc_lo
	;; [unrolled: 2-line block ×3, first 2 shown]
	s_delay_alu instid0(VALU_DEP_4) | instskip(NEXT) | instid1(VALU_DEP_4)
	v_add_co_u32 v4, vcc_lo, v4, v48
	v_add_co_ci_u32_e32 v5, vcc_lo, 0, v5, vcc_lo
	s_delay_alu instid0(VALU_DEP_4) | instskip(NEXT) | instid1(VALU_DEP_4)
	v_add_co_u32 v6, vcc_lo, v6, v48
	v_add_co_ci_u32_e32 v7, vcc_lo, 0, v7, vcc_lo
	s_clause 0x3
	global_load_b128 v[69:72], v[0:1], off
	global_load_b128 v[82:85], v[2:3], off
	;; [unrolled: 1-line block ×4, first 2 shown]
	v_dual_mov_b32 v73, 0 :: v_dual_mov_b32 v74, 0
	v_dual_mov_b32 v79, 0 :: v_dual_mov_b32 v80, 0
	;; [unrolled: 1-line block ×3, first 2 shown]
	s_waitcnt vmcnt(3)
	ds_store_b128 v35, v[69:72]
	s_waitcnt vmcnt(2)
	ds_store_b128 v36, v[82:85]
	;; [unrolled: 2-line block ×4, first 2 shown]
	s_waitcnt lgkmcnt(0)
	s_barrier
	buffer_gl0_inv
	ds_load_b128 v[85:88], v40 offset:20480
	ds_load_b128 v[89:92], v41
	v_mov_b32_e32 v82, 0
	ds_load_b128 v[93:96], v41 offset:640
	ds_load_b128 v[105:108], v40 offset:25088
	;; [unrolled: 1-line block ×6, first 2 shown]
	s_waitcnt lgkmcnt(6)
	;;#ASMSTART
	v_dot2_f32_f16 v81, v85, v89, v81
	;;#ASMEND
	;;#ASMSTART
	v_dot2_f32_f16 v81, v86, v90, v81
	;;#ASMEND
	;;#ASMSTART
	v_dot2_f32_f16 v81, v87, v91, v81
	;;#ASMEND
	;;#ASMSTART
	v_dot2_f32_f16 v81, v88, v92, v81
	;;#ASMEND
	s_waitcnt lgkmcnt(5)
	;;#ASMSTART
	v_dot2_f32_f16 v77, v85, v93, v77
	;;#ASMEND
	;;#ASMSTART
	v_dot2_f32_f16 v77, v86, v94, v77
	;;#ASMEND
	;; [unrolled: 3-line block ×4, first 2 shown]
	s_waitcnt lgkmcnt(3)
	;;#ASMSTART
	v_dot2_f32_f16 v73, v85, v97, v73
	;;#ASMEND
	;;#ASMSTART
	v_dot2_f32_f16 v73, v86, v98, v73
	;;#ASMEND
	v_dual_mov_b32 v69, 0 :: v_dual_mov_b32 v70, 0
	;;#ASMSTART
	v_dot2_f32_f16 v73, v87, v99, v73
	;;#ASMEND
	;;#ASMSTART
	v_dot2_f32_f16 v73, v88, v100, v73
	;;#ASMEND
	s_waitcnt lgkmcnt(2)
	;;#ASMSTART
	v_dot2_f32_f16 v69, v85, v101, v69
	;;#ASMEND
	;;#ASMSTART
	v_dot2_f32_f16 v69, v86, v102, v69
	;;#ASMEND
	;; [unrolled: 3-line block ×18, first 2 shown]
	v_dual_mov_b32 v83, 0 :: v_dual_mov_b32 v84, 0
	;;#ASMSTART
	v_dot2_f32_f16 v70, v107, v103, v70
	;;#ASMEND
	;;#ASMSTART
	v_dot2_f32_f16 v70, v108, v104, v70
	;;#ASMEND
	s_waitcnt lgkmcnt(1)
	;;#ASMSTART
	v_dot2_f32_f16 v83, v109, v89, v83
	;;#ASMEND
	;;#ASMSTART
	v_dot2_f32_f16 v83, v110, v90, v83
	;;#ASMEND
	;; [unrolled: 3-line block ×10, first 2 shown]
	v_dual_mov_b32 v71, 0 :: v_dual_mov_b32 v72, 0
	;;#ASMSTART
	v_dot2_f32_f16 v75, v111, v99, v75
	;;#ASMEND
	;;#ASMSTART
	v_dot2_f32_f16 v75, v112, v100, v75
	;;#ASMEND
	;; [unrolled: 3-line block ×6, first 2 shown]
	s_waitcnt lgkmcnt(0)
	;;#ASMSTART
	v_dot2_f32_f16 v84, v113, v89, v84
	;;#ASMEND
	;;#ASMSTART
	v_dot2_f32_f16 v84, v114, v90, v84
	;;#ASMEND
	;; [unrolled: 3-line block ×16, first 2 shown]
	ds_load_b128 v[85:88], v40 offset:20496
	ds_load_b128 v[89:92], v41 offset:16
	;; [unrolled: 1-line block ×8, first 2 shown]
	s_waitcnt lgkmcnt(6)
	;;#ASMSTART
	v_dot2_f32_f16 v81, v85, v89, v81
	;;#ASMEND
	;;#ASMSTART
	v_dot2_f32_f16 v81, v86, v90, v81
	;;#ASMEND
	;;#ASMSTART
	v_dot2_f32_f16 v81, v87, v91, v81
	;;#ASMEND
	;;#ASMSTART
	v_dot2_f32_f16 v81, v88, v92, v81
	;;#ASMEND
	s_waitcnt lgkmcnt(5)
	;;#ASMSTART
	v_dot2_f32_f16 v77, v85, v93, v77
	;;#ASMEND
	;;#ASMSTART
	v_dot2_f32_f16 v77, v86, v94, v77
	;;#ASMEND
	;;#ASMSTART
	v_dot2_f32_f16 v77, v87, v95, v77
	;;#ASMEND
	;;#ASMSTART
	v_dot2_f32_f16 v77, v88, v96, v77
	;;#ASMEND
	;; [unrolled: 13-line block ×5, first 2 shown]
	;;#ASMSTART
	v_dot2_f32_f16 v78, v105, v93, v78
	;;#ASMEND
	;;#ASMSTART
	v_dot2_f32_f16 v78, v106, v94, v78
	;;#ASMEND
	;; [unrolled: 3-line block ×12, first 2 shown]
	s_waitcnt lgkmcnt(1)
	;;#ASMSTART
	v_dot2_f32_f16 v83, v109, v89, v83
	;;#ASMEND
	;;#ASMSTART
	v_dot2_f32_f16 v83, v110, v90, v83
	;;#ASMEND
	;; [unrolled: 3-line block ×16, first 2 shown]
	s_waitcnt lgkmcnt(0)
	;;#ASMSTART
	v_dot2_f32_f16 v84, v113, v89, v84
	;;#ASMEND
	;;#ASMSTART
	v_dot2_f32_f16 v84, v114, v90, v84
	;;#ASMEND
	;;#ASMSTART
	v_dot2_f32_f16 v84, v115, v91, v84
	;;#ASMEND
	;;#ASMSTART
	v_dot2_f32_f16 v84, v116, v92, v84
	;;#ASMEND
	;;#ASMSTART
	v_dot2_f32_f16 v80, v113, v93, v80
	;;#ASMEND
	;;#ASMSTART
	v_dot2_f32_f16 v80, v114, v94, v80
	;;#ASMEND
	;;#ASMSTART
	v_dot2_f32_f16 v80, v115, v95, v80
	;;#ASMEND
	;;#ASMSTART
	v_dot2_f32_f16 v80, v116, v96, v80
	;;#ASMEND
	;;#ASMSTART
	v_dot2_f32_f16 v76, v113, v97, v76
	;;#ASMEND
	;;#ASMSTART
	v_dot2_f32_f16 v76, v114, v98, v76
	;;#ASMEND
	;;#ASMSTART
	v_dot2_f32_f16 v76, v115, v99, v76
	;;#ASMEND
	;;#ASMSTART
	v_dot2_f32_f16 v76, v116, v100, v76
	;;#ASMEND
	;;#ASMSTART
	v_dot2_f32_f16 v72, v113, v101, v72
	;;#ASMEND
	;;#ASMSTART
	v_dot2_f32_f16 v72, v114, v102, v72
	;;#ASMEND
	;;#ASMSTART
	v_dot2_f32_f16 v72, v115, v103, v72
	;;#ASMEND
	;;#ASMSTART
	v_dot2_f32_f16 v72, v116, v104, v72
	;;#ASMEND
	ds_load_b128 v[85:88], v40 offset:20512
	ds_load_b128 v[89:92], v41 offset:32
	;; [unrolled: 1-line block ×8, first 2 shown]
	s_waitcnt lgkmcnt(6)
	;;#ASMSTART
	v_dot2_f32_f16 v81, v85, v89, v81
	;;#ASMEND
	;;#ASMSTART
	v_dot2_f32_f16 v81, v86, v90, v81
	;;#ASMEND
	;;#ASMSTART
	v_dot2_f32_f16 v81, v87, v91, v81
	;;#ASMEND
	;;#ASMSTART
	v_dot2_f32_f16 v81, v88, v92, v81
	;;#ASMEND
	s_waitcnt lgkmcnt(5)
	;;#ASMSTART
	v_dot2_f32_f16 v77, v85, v93, v77
	;;#ASMEND
	;;#ASMSTART
	v_dot2_f32_f16 v77, v86, v94, v77
	;;#ASMEND
	;;#ASMSTART
	v_dot2_f32_f16 v77, v87, v95, v77
	;;#ASMEND
	;;#ASMSTART
	v_dot2_f32_f16 v77, v88, v96, v77
	;;#ASMEND
	s_waitcnt lgkmcnt(4)
	;;#ASMSTART
	v_dot2_f32_f16 v73, v85, v97, v73
	;;#ASMEND
	;;#ASMSTART
	v_dot2_f32_f16 v73, v86, v98, v73
	;;#ASMEND
	;;#ASMSTART
	v_dot2_f32_f16 v73, v87, v99, v73
	;;#ASMEND
	;;#ASMSTART
	v_dot2_f32_f16 v73, v88, v100, v73
	;;#ASMEND
	s_waitcnt lgkmcnt(3)
	;;#ASMSTART
	v_dot2_f32_f16 v69, v85, v101, v69
	;;#ASMEND
	;;#ASMSTART
	v_dot2_f32_f16 v69, v86, v102, v69
	;;#ASMEND
	;;#ASMSTART
	v_dot2_f32_f16 v69, v87, v103, v69
	;;#ASMEND
	;;#ASMSTART
	v_dot2_f32_f16 v69, v88, v104, v69
	;;#ASMEND
	s_waitcnt lgkmcnt(2)
	;;#ASMSTART
	v_dot2_f32_f16 v82, v105, v89, v82
	;;#ASMEND
	;;#ASMSTART
	v_dot2_f32_f16 v82, v106, v90, v82
	;;#ASMEND
	;;#ASMSTART
	v_dot2_f32_f16 v82, v107, v91, v82
	;;#ASMEND
	;;#ASMSTART
	v_dot2_f32_f16 v82, v108, v92, v82
	;;#ASMEND
	;;#ASMSTART
	v_dot2_f32_f16 v78, v105, v93, v78
	;;#ASMEND
	;;#ASMSTART
	v_dot2_f32_f16 v78, v106, v94, v78
	;;#ASMEND
	;; [unrolled: 3-line block ×12, first 2 shown]
	s_waitcnt lgkmcnt(1)
	;;#ASMSTART
	v_dot2_f32_f16 v83, v109, v89, v83
	;;#ASMEND
	;;#ASMSTART
	v_dot2_f32_f16 v83, v110, v90, v83
	;;#ASMEND
	;; [unrolled: 3-line block ×16, first 2 shown]
	s_waitcnt lgkmcnt(0)
	;;#ASMSTART
	v_dot2_f32_f16 v84, v113, v89, v84
	;;#ASMEND
	;;#ASMSTART
	v_dot2_f32_f16 v84, v114, v90, v84
	;;#ASMEND
	;; [unrolled: 3-line block ×16, first 2 shown]
	ds_load_b128 v[85:88], v40 offset:20528
	ds_load_b128 v[89:92], v41 offset:48
	ds_load_b128 v[93:96], v41 offset:688
	ds_load_b128 v[97:100], v41 offset:1328
	ds_load_b128 v[101:104], v41 offset:1968
	ds_load_b128 v[105:108], v40 offset:25136
	ds_load_b128 v[109:112], v40 offset:29744
	ds_load_b128 v[113:116], v40 offset:34352
	s_waitcnt lgkmcnt(6)
	;;#ASMSTART
	v_dot2_f32_f16 v81, v85, v89, v81
	;;#ASMEND
	;;#ASMSTART
	v_dot2_f32_f16 v81, v86, v90, v81
	;;#ASMEND
	;;#ASMSTART
	v_dot2_f32_f16 v81, v87, v91, v81
	;;#ASMEND
	;;#ASMSTART
	v_dot2_f32_f16 v81, v88, v92, v81
	;;#ASMEND
	s_waitcnt lgkmcnt(5)
	;;#ASMSTART
	v_dot2_f32_f16 v77, v85, v93, v77
	;;#ASMEND
	;;#ASMSTART
	v_dot2_f32_f16 v77, v86, v94, v77
	;;#ASMEND
	;;#ASMSTART
	v_dot2_f32_f16 v77, v87, v95, v77
	;;#ASMEND
	;;#ASMSTART
	v_dot2_f32_f16 v77, v88, v96, v77
	;;#ASMEND
	;; [unrolled: 13-line block ×5, first 2 shown]
	;;#ASMSTART
	v_dot2_f32_f16 v78, v105, v93, v78
	;;#ASMEND
	;;#ASMSTART
	v_dot2_f32_f16 v78, v106, v94, v78
	;;#ASMEND
	;;#ASMSTART
	v_dot2_f32_f16 v78, v107, v95, v78
	;;#ASMEND
	;;#ASMSTART
	v_dot2_f32_f16 v78, v108, v96, v78
	;;#ASMEND
	;;#ASMSTART
	v_dot2_f32_f16 v74, v105, v97, v74
	;;#ASMEND
	;;#ASMSTART
	v_dot2_f32_f16 v74, v106, v98, v74
	;;#ASMEND
	;;#ASMSTART
	v_dot2_f32_f16 v74, v107, v99, v74
	;;#ASMEND
	;;#ASMSTART
	v_dot2_f32_f16 v74, v108, v100, v74
	;;#ASMEND
	;;#ASMSTART
	v_dot2_f32_f16 v70, v105, v101, v70
	;;#ASMEND
	;;#ASMSTART
	v_dot2_f32_f16 v70, v106, v102, v70
	;;#ASMEND
	;;#ASMSTART
	v_dot2_f32_f16 v70, v107, v103, v70
	;;#ASMEND
	;;#ASMSTART
	v_dot2_f32_f16 v70, v108, v104, v70
	;;#ASMEND
	s_waitcnt lgkmcnt(1)
	;;#ASMSTART
	v_dot2_f32_f16 v83, v109, v89, v83
	;;#ASMEND
	;;#ASMSTART
	v_dot2_f32_f16 v83, v110, v90, v83
	;;#ASMEND
	;; [unrolled: 3-line block ×16, first 2 shown]
	s_waitcnt lgkmcnt(0)
	;;#ASMSTART
	v_dot2_f32_f16 v84, v113, v89, v84
	;;#ASMEND
	;;#ASMSTART
	v_dot2_f32_f16 v84, v114, v90, v84
	;;#ASMEND
	;; [unrolled: 3-line block ×16, first 2 shown]
	ds_load_b128 v[85:88], v40 offset:20544
	ds_load_b128 v[89:92], v41 offset:64
	;; [unrolled: 1-line block ×8, first 2 shown]
	s_waitcnt lgkmcnt(6)
	;;#ASMSTART
	v_dot2_f32_f16 v81, v85, v89, v81
	;;#ASMEND
	;;#ASMSTART
	v_dot2_f32_f16 v81, v86, v90, v81
	;;#ASMEND
	;;#ASMSTART
	v_dot2_f32_f16 v81, v87, v91, v81
	;;#ASMEND
	;;#ASMSTART
	v_dot2_f32_f16 v81, v88, v92, v81
	;;#ASMEND
	s_waitcnt lgkmcnt(5)
	;;#ASMSTART
	v_dot2_f32_f16 v77, v85, v93, v77
	;;#ASMEND
	;;#ASMSTART
	v_dot2_f32_f16 v77, v86, v94, v77
	;;#ASMEND
	;;#ASMSTART
	v_dot2_f32_f16 v77, v87, v95, v77
	;;#ASMEND
	;;#ASMSTART
	v_dot2_f32_f16 v77, v88, v96, v77
	;;#ASMEND
	;; [unrolled: 13-line block ×5, first 2 shown]
	;;#ASMSTART
	v_dot2_f32_f16 v78, v105, v93, v78
	;;#ASMEND
	;;#ASMSTART
	v_dot2_f32_f16 v78, v106, v94, v78
	;;#ASMEND
	;; [unrolled: 3-line block ×12, first 2 shown]
	s_waitcnt lgkmcnt(1)
	;;#ASMSTART
	v_dot2_f32_f16 v83, v109, v89, v83
	;;#ASMEND
	;;#ASMSTART
	v_dot2_f32_f16 v83, v110, v90, v83
	;;#ASMEND
	;; [unrolled: 3-line block ×16, first 2 shown]
	s_waitcnt lgkmcnt(0)
	;;#ASMSTART
	v_dot2_f32_f16 v84, v113, v89, v84
	;;#ASMEND
	;;#ASMSTART
	v_dot2_f32_f16 v84, v114, v90, v84
	;;#ASMEND
	;; [unrolled: 3-line block ×16, first 2 shown]
	ds_load_b128 v[85:88], v40 offset:20560
	ds_load_b128 v[89:92], v41 offset:80
	;; [unrolled: 1-line block ×8, first 2 shown]
	s_waitcnt lgkmcnt(6)
	;;#ASMSTART
	v_dot2_f32_f16 v81, v85, v89, v81
	;;#ASMEND
	;;#ASMSTART
	v_dot2_f32_f16 v81, v86, v90, v81
	;;#ASMEND
	;;#ASMSTART
	v_dot2_f32_f16 v81, v87, v91, v81
	;;#ASMEND
	;;#ASMSTART
	v_dot2_f32_f16 v81, v88, v92, v81
	;;#ASMEND
	s_waitcnt lgkmcnt(5)
	;;#ASMSTART
	v_dot2_f32_f16 v77, v85, v93, v77
	;;#ASMEND
	;;#ASMSTART
	v_dot2_f32_f16 v77, v86, v94, v77
	;;#ASMEND
	;;#ASMSTART
	v_dot2_f32_f16 v77, v87, v95, v77
	;;#ASMEND
	;;#ASMSTART
	v_dot2_f32_f16 v77, v88, v96, v77
	;;#ASMEND
	;; [unrolled: 13-line block ×5, first 2 shown]
	;;#ASMSTART
	v_dot2_f32_f16 v78, v105, v93, v78
	;;#ASMEND
	;;#ASMSTART
	v_dot2_f32_f16 v78, v106, v94, v78
	;;#ASMEND
	;; [unrolled: 3-line block ×12, first 2 shown]
	s_waitcnt lgkmcnt(1)
	;;#ASMSTART
	v_dot2_f32_f16 v83, v109, v89, v83
	;;#ASMEND
	;;#ASMSTART
	v_dot2_f32_f16 v83, v110, v90, v83
	;;#ASMEND
	;; [unrolled: 3-line block ×16, first 2 shown]
	s_waitcnt lgkmcnt(0)
	;;#ASMSTART
	v_dot2_f32_f16 v84, v113, v89, v84
	;;#ASMEND
	;;#ASMSTART
	v_dot2_f32_f16 v84, v114, v90, v84
	;;#ASMEND
	;; [unrolled: 3-line block ×16, first 2 shown]
	ds_load_b128 v[85:88], v40 offset:20576
	ds_load_b128 v[89:92], v41 offset:96
	;; [unrolled: 1-line block ×8, first 2 shown]
	s_waitcnt lgkmcnt(6)
	;;#ASMSTART
	v_dot2_f32_f16 v81, v85, v89, v81
	;;#ASMEND
	;;#ASMSTART
	v_dot2_f32_f16 v81, v86, v90, v81
	;;#ASMEND
	;;#ASMSTART
	v_dot2_f32_f16 v81, v87, v91, v81
	;;#ASMEND
	;;#ASMSTART
	v_dot2_f32_f16 v81, v88, v92, v81
	;;#ASMEND
	s_waitcnt lgkmcnt(5)
	;;#ASMSTART
	v_dot2_f32_f16 v77, v85, v93, v77
	;;#ASMEND
	;;#ASMSTART
	v_dot2_f32_f16 v77, v86, v94, v77
	;;#ASMEND
	;;#ASMSTART
	v_dot2_f32_f16 v77, v87, v95, v77
	;;#ASMEND
	;;#ASMSTART
	v_dot2_f32_f16 v77, v88, v96, v77
	;;#ASMEND
	;; [unrolled: 13-line block ×5, first 2 shown]
	;;#ASMSTART
	v_dot2_f32_f16 v78, v105, v93, v78
	;;#ASMEND
	;;#ASMSTART
	v_dot2_f32_f16 v78, v106, v94, v78
	;;#ASMEND
	;;#ASMSTART
	v_dot2_f32_f16 v78, v107, v95, v78
	;;#ASMEND
	;;#ASMSTART
	v_dot2_f32_f16 v78, v108, v96, v78
	;;#ASMEND
	;;#ASMSTART
	v_dot2_f32_f16 v74, v105, v97, v74
	;;#ASMEND
	;;#ASMSTART
	v_dot2_f32_f16 v74, v106, v98, v74
	;;#ASMEND
	;;#ASMSTART
	v_dot2_f32_f16 v74, v107, v99, v74
	;;#ASMEND
	;;#ASMSTART
	v_dot2_f32_f16 v74, v108, v100, v74
	;;#ASMEND
	;;#ASMSTART
	v_dot2_f32_f16 v70, v105, v101, v70
	;;#ASMEND
	;;#ASMSTART
	v_dot2_f32_f16 v70, v106, v102, v70
	;;#ASMEND
	;;#ASMSTART
	v_dot2_f32_f16 v70, v107, v103, v70
	;;#ASMEND
	;;#ASMSTART
	v_dot2_f32_f16 v70, v108, v104, v70
	;;#ASMEND
	s_waitcnt lgkmcnt(1)
	;;#ASMSTART
	v_dot2_f32_f16 v83, v109, v89, v83
	;;#ASMEND
	;;#ASMSTART
	v_dot2_f32_f16 v83, v110, v90, v83
	;;#ASMEND
	;; [unrolled: 3-line block ×16, first 2 shown]
	s_waitcnt lgkmcnt(0)
	;;#ASMSTART
	v_dot2_f32_f16 v84, v113, v89, v84
	;;#ASMEND
	;;#ASMSTART
	v_dot2_f32_f16 v84, v114, v90, v84
	;;#ASMEND
	;;#ASMSTART
	v_dot2_f32_f16 v84, v115, v91, v84
	;;#ASMEND
	;;#ASMSTART
	v_dot2_f32_f16 v84, v116, v92, v84
	;;#ASMEND
	;;#ASMSTART
	v_dot2_f32_f16 v80, v113, v93, v80
	;;#ASMEND
	;;#ASMSTART
	v_dot2_f32_f16 v80, v114, v94, v80
	;;#ASMEND
	;;#ASMSTART
	v_dot2_f32_f16 v80, v115, v95, v80
	;;#ASMEND
	;;#ASMSTART
	v_dot2_f32_f16 v80, v116, v96, v80
	;;#ASMEND
	;;#ASMSTART
	v_dot2_f32_f16 v76, v113, v97, v76
	;;#ASMEND
	;;#ASMSTART
	v_dot2_f32_f16 v76, v114, v98, v76
	;;#ASMEND
	;;#ASMSTART
	v_dot2_f32_f16 v76, v115, v99, v76
	;;#ASMEND
	;;#ASMSTART
	v_dot2_f32_f16 v76, v116, v100, v76
	;;#ASMEND
	;;#ASMSTART
	v_dot2_f32_f16 v72, v113, v101, v72
	;;#ASMEND
	;;#ASMSTART
	v_dot2_f32_f16 v72, v114, v102, v72
	;;#ASMEND
	;;#ASMSTART
	v_dot2_f32_f16 v72, v115, v103, v72
	;;#ASMEND
	;;#ASMSTART
	v_dot2_f32_f16 v72, v116, v104, v72
	;;#ASMEND
	ds_load_b128 v[85:88], v40 offset:20592
	ds_load_b128 v[89:92], v41 offset:112
	;; [unrolled: 1-line block ×8, first 2 shown]
	s_waitcnt lgkmcnt(6)
	;;#ASMSTART
	v_dot2_f32_f16 v81, v85, v89, v81
	;;#ASMEND
	;;#ASMSTART
	v_dot2_f32_f16 v81, v86, v90, v81
	;;#ASMEND
	;;#ASMSTART
	v_dot2_f32_f16 v81, v87, v91, v81
	;;#ASMEND
	;;#ASMSTART
	v_dot2_f32_f16 v81, v88, v92, v81
	;;#ASMEND
	s_waitcnt lgkmcnt(5)
	;;#ASMSTART
	v_dot2_f32_f16 v77, v85, v93, v77
	;;#ASMEND
	;;#ASMSTART
	v_dot2_f32_f16 v77, v86, v94, v77
	;;#ASMEND
	;;#ASMSTART
	v_dot2_f32_f16 v77, v87, v95, v77
	;;#ASMEND
	;;#ASMSTART
	v_dot2_f32_f16 v77, v88, v96, v77
	;;#ASMEND
	;; [unrolled: 13-line block ×5, first 2 shown]
	;;#ASMSTART
	v_dot2_f32_f16 v78, v105, v93, v78
	;;#ASMEND
	;;#ASMSTART
	v_dot2_f32_f16 v78, v106, v94, v78
	;;#ASMEND
	;; [unrolled: 3-line block ×12, first 2 shown]
	s_waitcnt lgkmcnt(1)
	;;#ASMSTART
	v_dot2_f32_f16 v83, v109, v89, v83
	;;#ASMEND
	;;#ASMSTART
	v_dot2_f32_f16 v83, v110, v90, v83
	;;#ASMEND
	;; [unrolled: 3-line block ×16, first 2 shown]
	s_waitcnt lgkmcnt(0)
	;;#ASMSTART
	v_dot2_f32_f16 v84, v113, v89, v84
	;;#ASMEND
	;;#ASMSTART
	v_dot2_f32_f16 v84, v114, v90, v84
	;;#ASMEND
	;; [unrolled: 3-line block ×16, first 2 shown]
	s_barrier
	buffer_gl0_inv
	s_clause 0x3
	global_load_b128 v[85:88], v[0:1], off offset:128
	global_load_b128 v[89:92], v[2:3], off offset:128
	;; [unrolled: 1-line block ×4, first 2 shown]
	s_waitcnt vmcnt(3)
	ds_store_b128 v35, v[85:88]
	s_waitcnt vmcnt(2)
	ds_store_b128 v36, v[89:92]
	;; [unrolled: 2-line block ×4, first 2 shown]
	s_waitcnt lgkmcnt(0)
	s_barrier
	buffer_gl0_inv
	ds_load_b128 v[85:88], v40 offset:20480
	ds_load_b128 v[89:92], v41 offset:128
	;; [unrolled: 1-line block ×8, first 2 shown]
	s_waitcnt lgkmcnt(6)
	;;#ASMSTART
	v_dot2_f32_f16 v81, v85, v89, v81
	;;#ASMEND
	;;#ASMSTART
	v_dot2_f32_f16 v81, v86, v90, v81
	;;#ASMEND
	;;#ASMSTART
	v_dot2_f32_f16 v81, v87, v91, v81
	;;#ASMEND
	;;#ASMSTART
	v_dot2_f32_f16 v81, v88, v92, v81
	;;#ASMEND
	s_waitcnt lgkmcnt(5)
	;;#ASMSTART
	v_dot2_f32_f16 v77, v85, v93, v77
	;;#ASMEND
	;;#ASMSTART
	v_dot2_f32_f16 v77, v86, v94, v77
	;;#ASMEND
	;;#ASMSTART
	v_dot2_f32_f16 v77, v87, v95, v77
	;;#ASMEND
	;;#ASMSTART
	v_dot2_f32_f16 v77, v88, v96, v77
	;;#ASMEND
	;; [unrolled: 13-line block ×5, first 2 shown]
	;;#ASMSTART
	v_dot2_f32_f16 v78, v105, v93, v78
	;;#ASMEND
	;;#ASMSTART
	v_dot2_f32_f16 v78, v106, v94, v78
	;;#ASMEND
	;; [unrolled: 3-line block ×12, first 2 shown]
	s_waitcnt lgkmcnt(1)
	;;#ASMSTART
	v_dot2_f32_f16 v83, v109, v89, v83
	;;#ASMEND
	;;#ASMSTART
	v_dot2_f32_f16 v83, v110, v90, v83
	;;#ASMEND
	;; [unrolled: 3-line block ×16, first 2 shown]
	s_waitcnt lgkmcnt(0)
	;;#ASMSTART
	v_dot2_f32_f16 v84, v113, v89, v84
	;;#ASMEND
	;;#ASMSTART
	v_dot2_f32_f16 v84, v114, v90, v84
	;;#ASMEND
	;; [unrolled: 3-line block ×16, first 2 shown]
	ds_load_b128 v[85:88], v40 offset:20496
	ds_load_b128 v[89:92], v41 offset:144
	;; [unrolled: 1-line block ×8, first 2 shown]
	s_waitcnt lgkmcnt(6)
	;;#ASMSTART
	v_dot2_f32_f16 v81, v85, v89, v81
	;;#ASMEND
	;;#ASMSTART
	v_dot2_f32_f16 v81, v86, v90, v81
	;;#ASMEND
	;;#ASMSTART
	v_dot2_f32_f16 v81, v87, v91, v81
	;;#ASMEND
	;;#ASMSTART
	v_dot2_f32_f16 v81, v88, v92, v81
	;;#ASMEND
	s_waitcnt lgkmcnt(5)
	;;#ASMSTART
	v_dot2_f32_f16 v77, v85, v93, v77
	;;#ASMEND
	;;#ASMSTART
	v_dot2_f32_f16 v77, v86, v94, v77
	;;#ASMEND
	;;#ASMSTART
	v_dot2_f32_f16 v77, v87, v95, v77
	;;#ASMEND
	;;#ASMSTART
	v_dot2_f32_f16 v77, v88, v96, v77
	;;#ASMEND
	;; [unrolled: 13-line block ×5, first 2 shown]
	;;#ASMSTART
	v_dot2_f32_f16 v78, v105, v93, v78
	;;#ASMEND
	;;#ASMSTART
	v_dot2_f32_f16 v78, v106, v94, v78
	;;#ASMEND
	;; [unrolled: 3-line block ×12, first 2 shown]
	s_waitcnt lgkmcnt(1)
	;;#ASMSTART
	v_dot2_f32_f16 v83, v109, v89, v83
	;;#ASMEND
	;;#ASMSTART
	v_dot2_f32_f16 v83, v110, v90, v83
	;;#ASMEND
	;; [unrolled: 3-line block ×16, first 2 shown]
	s_waitcnt lgkmcnt(0)
	;;#ASMSTART
	v_dot2_f32_f16 v84, v113, v89, v84
	;;#ASMEND
	;;#ASMSTART
	v_dot2_f32_f16 v84, v114, v90, v84
	;;#ASMEND
	;; [unrolled: 3-line block ×16, first 2 shown]
	ds_load_b128 v[85:88], v40 offset:20512
	ds_load_b128 v[89:92], v41 offset:160
	;; [unrolled: 1-line block ×8, first 2 shown]
	s_waitcnt lgkmcnt(6)
	;;#ASMSTART
	v_dot2_f32_f16 v81, v85, v89, v81
	;;#ASMEND
	;;#ASMSTART
	v_dot2_f32_f16 v81, v86, v90, v81
	;;#ASMEND
	;;#ASMSTART
	v_dot2_f32_f16 v81, v87, v91, v81
	;;#ASMEND
	;;#ASMSTART
	v_dot2_f32_f16 v81, v88, v92, v81
	;;#ASMEND
	s_waitcnt lgkmcnt(5)
	;;#ASMSTART
	v_dot2_f32_f16 v77, v85, v93, v77
	;;#ASMEND
	;;#ASMSTART
	v_dot2_f32_f16 v77, v86, v94, v77
	;;#ASMEND
	;;#ASMSTART
	v_dot2_f32_f16 v77, v87, v95, v77
	;;#ASMEND
	;;#ASMSTART
	v_dot2_f32_f16 v77, v88, v96, v77
	;;#ASMEND
	;; [unrolled: 13-line block ×5, first 2 shown]
	;;#ASMSTART
	v_dot2_f32_f16 v78, v105, v93, v78
	;;#ASMEND
	;;#ASMSTART
	v_dot2_f32_f16 v78, v106, v94, v78
	;;#ASMEND
	;; [unrolled: 3-line block ×12, first 2 shown]
	s_waitcnt lgkmcnt(1)
	;;#ASMSTART
	v_dot2_f32_f16 v83, v109, v89, v83
	;;#ASMEND
	;;#ASMSTART
	v_dot2_f32_f16 v83, v110, v90, v83
	;;#ASMEND
	;; [unrolled: 3-line block ×16, first 2 shown]
	s_waitcnt lgkmcnt(0)
	;;#ASMSTART
	v_dot2_f32_f16 v84, v113, v89, v84
	;;#ASMEND
	;;#ASMSTART
	v_dot2_f32_f16 v84, v114, v90, v84
	;;#ASMEND
	;; [unrolled: 3-line block ×16, first 2 shown]
	ds_load_b128 v[85:88], v40 offset:20528
	ds_load_b128 v[89:92], v41 offset:176
	ds_load_b128 v[93:96], v41 offset:816
	ds_load_b128 v[97:100], v41 offset:1456
	ds_load_b128 v[101:104], v41 offset:2096
	ds_load_b128 v[105:108], v40 offset:25136
	ds_load_b128 v[109:112], v40 offset:29744
	ds_load_b128 v[113:116], v40 offset:34352
	s_waitcnt lgkmcnt(6)
	;;#ASMSTART
	v_dot2_f32_f16 v81, v85, v89, v81
	;;#ASMEND
	;;#ASMSTART
	v_dot2_f32_f16 v81, v86, v90, v81
	;;#ASMEND
	;;#ASMSTART
	v_dot2_f32_f16 v81, v87, v91, v81
	;;#ASMEND
	;;#ASMSTART
	v_dot2_f32_f16 v81, v88, v92, v81
	;;#ASMEND
	s_waitcnt lgkmcnt(5)
	;;#ASMSTART
	v_dot2_f32_f16 v77, v85, v93, v77
	;;#ASMEND
	;;#ASMSTART
	v_dot2_f32_f16 v77, v86, v94, v77
	;;#ASMEND
	;;#ASMSTART
	v_dot2_f32_f16 v77, v87, v95, v77
	;;#ASMEND
	;;#ASMSTART
	v_dot2_f32_f16 v77, v88, v96, v77
	;;#ASMEND
	;; [unrolled: 13-line block ×5, first 2 shown]
	;;#ASMSTART
	v_dot2_f32_f16 v78, v105, v93, v78
	;;#ASMEND
	;;#ASMSTART
	v_dot2_f32_f16 v78, v106, v94, v78
	;;#ASMEND
	;; [unrolled: 3-line block ×12, first 2 shown]
	s_waitcnt lgkmcnt(1)
	;;#ASMSTART
	v_dot2_f32_f16 v83, v109, v89, v83
	;;#ASMEND
	;;#ASMSTART
	v_dot2_f32_f16 v83, v110, v90, v83
	;;#ASMEND
	;;#ASMSTART
	v_dot2_f32_f16 v83, v111, v91, v83
	;;#ASMEND
	;;#ASMSTART
	v_dot2_f32_f16 v83, v112, v92, v83
	;;#ASMEND
	;;#ASMSTART
	v_dot2_f32_f16 v79, v109, v93, v79
	;;#ASMEND
	;;#ASMSTART
	v_dot2_f32_f16 v79, v110, v94, v79
	;;#ASMEND
	;;#ASMSTART
	v_dot2_f32_f16 v79, v111, v95, v79
	;;#ASMEND
	;;#ASMSTART
	v_dot2_f32_f16 v79, v112, v96, v79
	;;#ASMEND
	;;#ASMSTART
	v_dot2_f32_f16 v75, v109, v97, v75
	;;#ASMEND
	;;#ASMSTART
	v_dot2_f32_f16 v75, v110, v98, v75
	;;#ASMEND
	;;#ASMSTART
	v_dot2_f32_f16 v75, v111, v99, v75
	;;#ASMEND
	;;#ASMSTART
	v_dot2_f32_f16 v75, v112, v100, v75
	;;#ASMEND
	;;#ASMSTART
	v_dot2_f32_f16 v71, v109, v101, v71
	;;#ASMEND
	;;#ASMSTART
	v_dot2_f32_f16 v71, v110, v102, v71
	;;#ASMEND
	;;#ASMSTART
	v_dot2_f32_f16 v71, v111, v103, v71
	;;#ASMEND
	;;#ASMSTART
	v_dot2_f32_f16 v71, v112, v104, v71
	;;#ASMEND
	s_waitcnt lgkmcnt(0)
	;;#ASMSTART
	v_dot2_f32_f16 v84, v113, v89, v84
	;;#ASMEND
	;;#ASMSTART
	v_dot2_f32_f16 v84, v114, v90, v84
	;;#ASMEND
	;;#ASMSTART
	v_dot2_f32_f16 v84, v115, v91, v84
	;;#ASMEND
	;;#ASMSTART
	v_dot2_f32_f16 v84, v116, v92, v84
	;;#ASMEND
	;;#ASMSTART
	v_dot2_f32_f16 v80, v113, v93, v80
	;;#ASMEND
	;;#ASMSTART
	v_dot2_f32_f16 v80, v114, v94, v80
	;;#ASMEND
	;;#ASMSTART
	v_dot2_f32_f16 v80, v115, v95, v80
	;;#ASMEND
	;;#ASMSTART
	v_dot2_f32_f16 v80, v116, v96, v80
	;;#ASMEND
	;;#ASMSTART
	v_dot2_f32_f16 v76, v113, v97, v76
	;;#ASMEND
	;;#ASMSTART
	v_dot2_f32_f16 v76, v114, v98, v76
	;;#ASMEND
	;;#ASMSTART
	v_dot2_f32_f16 v76, v115, v99, v76
	;;#ASMEND
	;;#ASMSTART
	v_dot2_f32_f16 v76, v116, v100, v76
	;;#ASMEND
	;;#ASMSTART
	v_dot2_f32_f16 v72, v113, v101, v72
	;;#ASMEND
	;;#ASMSTART
	v_dot2_f32_f16 v72, v114, v102, v72
	;;#ASMEND
	;;#ASMSTART
	v_dot2_f32_f16 v72, v115, v103, v72
	;;#ASMEND
	;;#ASMSTART
	v_dot2_f32_f16 v72, v116, v104, v72
	;;#ASMEND
	ds_load_b128 v[85:88], v40 offset:20544
	ds_load_b128 v[89:92], v41 offset:192
	;; [unrolled: 1-line block ×8, first 2 shown]
	s_waitcnt lgkmcnt(6)
	;;#ASMSTART
	v_dot2_f32_f16 v81, v85, v89, v81
	;;#ASMEND
	;;#ASMSTART
	v_dot2_f32_f16 v81, v86, v90, v81
	;;#ASMEND
	;;#ASMSTART
	v_dot2_f32_f16 v81, v87, v91, v81
	;;#ASMEND
	;;#ASMSTART
	v_dot2_f32_f16 v81, v88, v92, v81
	;;#ASMEND
	s_waitcnt lgkmcnt(5)
	;;#ASMSTART
	v_dot2_f32_f16 v77, v85, v93, v77
	;;#ASMEND
	;;#ASMSTART
	v_dot2_f32_f16 v77, v86, v94, v77
	;;#ASMEND
	;;#ASMSTART
	v_dot2_f32_f16 v77, v87, v95, v77
	;;#ASMEND
	;;#ASMSTART
	v_dot2_f32_f16 v77, v88, v96, v77
	;;#ASMEND
	;; [unrolled: 13-line block ×5, first 2 shown]
	;;#ASMSTART
	v_dot2_f32_f16 v78, v105, v93, v78
	;;#ASMEND
	;;#ASMSTART
	v_dot2_f32_f16 v78, v106, v94, v78
	;;#ASMEND
	;; [unrolled: 3-line block ×12, first 2 shown]
	s_waitcnt lgkmcnt(1)
	;;#ASMSTART
	v_dot2_f32_f16 v83, v109, v89, v83
	;;#ASMEND
	;;#ASMSTART
	v_dot2_f32_f16 v83, v110, v90, v83
	;;#ASMEND
	;; [unrolled: 3-line block ×16, first 2 shown]
	s_waitcnt lgkmcnt(0)
	;;#ASMSTART
	v_dot2_f32_f16 v84, v113, v89, v84
	;;#ASMEND
	;;#ASMSTART
	v_dot2_f32_f16 v84, v114, v90, v84
	;;#ASMEND
	;; [unrolled: 3-line block ×16, first 2 shown]
	ds_load_b128 v[85:88], v40 offset:20560
	ds_load_b128 v[89:92], v41 offset:208
	;; [unrolled: 1-line block ×8, first 2 shown]
	s_waitcnt lgkmcnt(6)
	;;#ASMSTART
	v_dot2_f32_f16 v81, v85, v89, v81
	;;#ASMEND
	;;#ASMSTART
	v_dot2_f32_f16 v81, v86, v90, v81
	;;#ASMEND
	;;#ASMSTART
	v_dot2_f32_f16 v81, v87, v91, v81
	;;#ASMEND
	;;#ASMSTART
	v_dot2_f32_f16 v81, v88, v92, v81
	;;#ASMEND
	s_waitcnt lgkmcnt(5)
	;;#ASMSTART
	v_dot2_f32_f16 v77, v85, v93, v77
	;;#ASMEND
	;;#ASMSTART
	v_dot2_f32_f16 v77, v86, v94, v77
	;;#ASMEND
	;;#ASMSTART
	v_dot2_f32_f16 v77, v87, v95, v77
	;;#ASMEND
	;;#ASMSTART
	v_dot2_f32_f16 v77, v88, v96, v77
	;;#ASMEND
	;; [unrolled: 13-line block ×5, first 2 shown]
	;;#ASMSTART
	v_dot2_f32_f16 v78, v105, v93, v78
	;;#ASMEND
	;;#ASMSTART
	v_dot2_f32_f16 v78, v106, v94, v78
	;;#ASMEND
	;; [unrolled: 3-line block ×12, first 2 shown]
	s_waitcnt lgkmcnt(1)
	;;#ASMSTART
	v_dot2_f32_f16 v83, v109, v89, v83
	;;#ASMEND
	;;#ASMSTART
	v_dot2_f32_f16 v83, v110, v90, v83
	;;#ASMEND
	;; [unrolled: 3-line block ×16, first 2 shown]
	s_waitcnt lgkmcnt(0)
	;;#ASMSTART
	v_dot2_f32_f16 v84, v113, v89, v84
	;;#ASMEND
	;;#ASMSTART
	v_dot2_f32_f16 v84, v114, v90, v84
	;;#ASMEND
	;; [unrolled: 3-line block ×16, first 2 shown]
	ds_load_b128 v[85:88], v40 offset:20576
	ds_load_b128 v[89:92], v41 offset:224
	;; [unrolled: 1-line block ×8, first 2 shown]
	s_waitcnt lgkmcnt(6)
	;;#ASMSTART
	v_dot2_f32_f16 v81, v85, v89, v81
	;;#ASMEND
	;;#ASMSTART
	v_dot2_f32_f16 v81, v86, v90, v81
	;;#ASMEND
	;;#ASMSTART
	v_dot2_f32_f16 v81, v87, v91, v81
	;;#ASMEND
	;;#ASMSTART
	v_dot2_f32_f16 v81, v88, v92, v81
	;;#ASMEND
	s_waitcnt lgkmcnt(5)
	;;#ASMSTART
	v_dot2_f32_f16 v77, v85, v93, v77
	;;#ASMEND
	;;#ASMSTART
	v_dot2_f32_f16 v77, v86, v94, v77
	;;#ASMEND
	;;#ASMSTART
	v_dot2_f32_f16 v77, v87, v95, v77
	;;#ASMEND
	;;#ASMSTART
	v_dot2_f32_f16 v77, v88, v96, v77
	;;#ASMEND
	;; [unrolled: 13-line block ×5, first 2 shown]
	;;#ASMSTART
	v_dot2_f32_f16 v78, v105, v93, v78
	;;#ASMEND
	;;#ASMSTART
	v_dot2_f32_f16 v78, v106, v94, v78
	;;#ASMEND
	;; [unrolled: 3-line block ×12, first 2 shown]
	s_waitcnt lgkmcnt(1)
	;;#ASMSTART
	v_dot2_f32_f16 v83, v109, v89, v83
	;;#ASMEND
	;;#ASMSTART
	v_dot2_f32_f16 v83, v110, v90, v83
	;;#ASMEND
	;; [unrolled: 3-line block ×16, first 2 shown]
	s_waitcnt lgkmcnt(0)
	;;#ASMSTART
	v_dot2_f32_f16 v84, v113, v89, v84
	;;#ASMEND
	;;#ASMSTART
	v_dot2_f32_f16 v84, v114, v90, v84
	;;#ASMEND
	;; [unrolled: 3-line block ×16, first 2 shown]
	ds_load_b128 v[85:88], v40 offset:20592
	ds_load_b128 v[89:92], v41 offset:240
	;; [unrolled: 1-line block ×8, first 2 shown]
	s_waitcnt lgkmcnt(6)
	;;#ASMSTART
	v_dot2_f32_f16 v81, v85, v89, v81
	;;#ASMEND
	;;#ASMSTART
	v_dot2_f32_f16 v81, v86, v90, v81
	;;#ASMEND
	;;#ASMSTART
	v_dot2_f32_f16 v81, v87, v91, v81
	;;#ASMEND
	;;#ASMSTART
	v_dot2_f32_f16 v81, v88, v92, v81
	;;#ASMEND
	s_waitcnt lgkmcnt(5)
	;;#ASMSTART
	v_dot2_f32_f16 v77, v85, v93, v77
	;;#ASMEND
	;;#ASMSTART
	v_dot2_f32_f16 v77, v86, v94, v77
	;;#ASMEND
	;;#ASMSTART
	v_dot2_f32_f16 v77, v87, v95, v77
	;;#ASMEND
	;;#ASMSTART
	v_dot2_f32_f16 v77, v88, v96, v77
	;;#ASMEND
	;; [unrolled: 13-line block ×5, first 2 shown]
	;;#ASMSTART
	v_dot2_f32_f16 v78, v105, v93, v78
	;;#ASMEND
	;;#ASMSTART
	v_dot2_f32_f16 v78, v106, v94, v78
	;;#ASMEND
	;; [unrolled: 3-line block ×12, first 2 shown]
	s_waitcnt lgkmcnt(1)
	;;#ASMSTART
	v_dot2_f32_f16 v83, v109, v89, v83
	;;#ASMEND
	;;#ASMSTART
	v_dot2_f32_f16 v83, v110, v90, v83
	;;#ASMEND
	;; [unrolled: 3-line block ×16, first 2 shown]
	s_waitcnt lgkmcnt(0)
	;;#ASMSTART
	v_dot2_f32_f16 v84, v113, v89, v84
	;;#ASMEND
	;;#ASMSTART
	v_dot2_f32_f16 v84, v114, v90, v84
	;;#ASMEND
	;; [unrolled: 3-line block ×16, first 2 shown]
	s_barrier
	buffer_gl0_inv
	s_clause 0x3
	global_load_b128 v[85:88], v[0:1], off offset:256
	global_load_b128 v[89:92], v[2:3], off offset:256
	;; [unrolled: 1-line block ×4, first 2 shown]
	s_waitcnt vmcnt(3)
	ds_store_b128 v35, v[85:88]
	s_waitcnt vmcnt(2)
	ds_store_b128 v36, v[89:92]
	;; [unrolled: 2-line block ×4, first 2 shown]
	s_waitcnt lgkmcnt(0)
	s_barrier
	buffer_gl0_inv
	ds_load_b128 v[85:88], v40 offset:20480
	ds_load_b128 v[89:92], v41 offset:256
	;; [unrolled: 1-line block ×8, first 2 shown]
	s_waitcnt lgkmcnt(6)
	;;#ASMSTART
	v_dot2_f32_f16 v81, v85, v89, v81
	;;#ASMEND
	;;#ASMSTART
	v_dot2_f32_f16 v81, v86, v90, v81
	;;#ASMEND
	;;#ASMSTART
	v_dot2_f32_f16 v81, v87, v91, v81
	;;#ASMEND
	;;#ASMSTART
	v_dot2_f32_f16 v81, v88, v92, v81
	;;#ASMEND
	s_waitcnt lgkmcnt(5)
	;;#ASMSTART
	v_dot2_f32_f16 v77, v85, v93, v77
	;;#ASMEND
	;;#ASMSTART
	v_dot2_f32_f16 v77, v86, v94, v77
	;;#ASMEND
	;;#ASMSTART
	v_dot2_f32_f16 v77, v87, v95, v77
	;;#ASMEND
	;;#ASMSTART
	v_dot2_f32_f16 v77, v88, v96, v77
	;;#ASMEND
	;; [unrolled: 13-line block ×5, first 2 shown]
	;;#ASMSTART
	v_dot2_f32_f16 v78, v105, v93, v78
	;;#ASMEND
	;;#ASMSTART
	v_dot2_f32_f16 v78, v106, v94, v78
	;;#ASMEND
	;; [unrolled: 3-line block ×12, first 2 shown]
	s_waitcnt lgkmcnt(1)
	;;#ASMSTART
	v_dot2_f32_f16 v83, v109, v89, v83
	;;#ASMEND
	;;#ASMSTART
	v_dot2_f32_f16 v83, v110, v90, v83
	;;#ASMEND
	;; [unrolled: 3-line block ×16, first 2 shown]
	s_waitcnt lgkmcnt(0)
	;;#ASMSTART
	v_dot2_f32_f16 v84, v113, v89, v84
	;;#ASMEND
	;;#ASMSTART
	v_dot2_f32_f16 v84, v114, v90, v84
	;;#ASMEND
	;; [unrolled: 3-line block ×16, first 2 shown]
	ds_load_b128 v[85:88], v40 offset:20496
	ds_load_b128 v[89:92], v41 offset:272
	;; [unrolled: 1-line block ×8, first 2 shown]
	s_waitcnt lgkmcnt(6)
	;;#ASMSTART
	v_dot2_f32_f16 v81, v85, v89, v81
	;;#ASMEND
	;;#ASMSTART
	v_dot2_f32_f16 v81, v86, v90, v81
	;;#ASMEND
	;;#ASMSTART
	v_dot2_f32_f16 v81, v87, v91, v81
	;;#ASMEND
	;;#ASMSTART
	v_dot2_f32_f16 v81, v88, v92, v81
	;;#ASMEND
	s_waitcnt lgkmcnt(5)
	;;#ASMSTART
	v_dot2_f32_f16 v77, v85, v93, v77
	;;#ASMEND
	;;#ASMSTART
	v_dot2_f32_f16 v77, v86, v94, v77
	;;#ASMEND
	;;#ASMSTART
	v_dot2_f32_f16 v77, v87, v95, v77
	;;#ASMEND
	;;#ASMSTART
	v_dot2_f32_f16 v77, v88, v96, v77
	;;#ASMEND
	s_waitcnt lgkmcnt(4)
	;;#ASMSTART
	v_dot2_f32_f16 v73, v85, v97, v73
	;;#ASMEND
	;;#ASMSTART
	v_dot2_f32_f16 v73, v86, v98, v73
	;;#ASMEND
	;;#ASMSTART
	v_dot2_f32_f16 v73, v87, v99, v73
	;;#ASMEND
	;;#ASMSTART
	v_dot2_f32_f16 v73, v88, v100, v73
	;;#ASMEND
	s_waitcnt lgkmcnt(3)
	;;#ASMSTART
	v_dot2_f32_f16 v69, v85, v101, v69
	;;#ASMEND
	;;#ASMSTART
	v_dot2_f32_f16 v69, v86, v102, v69
	;;#ASMEND
	;;#ASMSTART
	v_dot2_f32_f16 v69, v87, v103, v69
	;;#ASMEND
	;;#ASMSTART
	v_dot2_f32_f16 v69, v88, v104, v69
	;;#ASMEND
	s_waitcnt lgkmcnt(2)
	;;#ASMSTART
	v_dot2_f32_f16 v82, v105, v89, v82
	;;#ASMEND
	;;#ASMSTART
	v_dot2_f32_f16 v82, v106, v90, v82
	;;#ASMEND
	;;#ASMSTART
	v_dot2_f32_f16 v82, v107, v91, v82
	;;#ASMEND
	;;#ASMSTART
	v_dot2_f32_f16 v82, v108, v92, v82
	;;#ASMEND
	;;#ASMSTART
	v_dot2_f32_f16 v78, v105, v93, v78
	;;#ASMEND
	;;#ASMSTART
	v_dot2_f32_f16 v78, v106, v94, v78
	;;#ASMEND
	;; [unrolled: 3-line block ×12, first 2 shown]
	s_waitcnt lgkmcnt(1)
	;;#ASMSTART
	v_dot2_f32_f16 v83, v109, v89, v83
	;;#ASMEND
	;;#ASMSTART
	v_dot2_f32_f16 v83, v110, v90, v83
	;;#ASMEND
	;; [unrolled: 3-line block ×16, first 2 shown]
	s_waitcnt lgkmcnt(0)
	;;#ASMSTART
	v_dot2_f32_f16 v84, v113, v89, v84
	;;#ASMEND
	;;#ASMSTART
	v_dot2_f32_f16 v84, v114, v90, v84
	;;#ASMEND
	;;#ASMSTART
	v_dot2_f32_f16 v84, v115, v91, v84
	;;#ASMEND
	;;#ASMSTART
	v_dot2_f32_f16 v84, v116, v92, v84
	;;#ASMEND
	;;#ASMSTART
	v_dot2_f32_f16 v80, v113, v93, v80
	;;#ASMEND
	;;#ASMSTART
	v_dot2_f32_f16 v80, v114, v94, v80
	;;#ASMEND
	;;#ASMSTART
	v_dot2_f32_f16 v80, v115, v95, v80
	;;#ASMEND
	;;#ASMSTART
	v_dot2_f32_f16 v80, v116, v96, v80
	;;#ASMEND
	;;#ASMSTART
	v_dot2_f32_f16 v76, v113, v97, v76
	;;#ASMEND
	;;#ASMSTART
	v_dot2_f32_f16 v76, v114, v98, v76
	;;#ASMEND
	;;#ASMSTART
	v_dot2_f32_f16 v76, v115, v99, v76
	;;#ASMEND
	;;#ASMSTART
	v_dot2_f32_f16 v76, v116, v100, v76
	;;#ASMEND
	;;#ASMSTART
	v_dot2_f32_f16 v72, v113, v101, v72
	;;#ASMEND
	;;#ASMSTART
	v_dot2_f32_f16 v72, v114, v102, v72
	;;#ASMEND
	;;#ASMSTART
	v_dot2_f32_f16 v72, v115, v103, v72
	;;#ASMEND
	;;#ASMSTART
	v_dot2_f32_f16 v72, v116, v104, v72
	;;#ASMEND
	ds_load_b128 v[85:88], v40 offset:20512
	ds_load_b128 v[89:92], v41 offset:288
	;; [unrolled: 1-line block ×8, first 2 shown]
	s_waitcnt lgkmcnt(6)
	;;#ASMSTART
	v_dot2_f32_f16 v81, v85, v89, v81
	;;#ASMEND
	;;#ASMSTART
	v_dot2_f32_f16 v81, v86, v90, v81
	;;#ASMEND
	;;#ASMSTART
	v_dot2_f32_f16 v81, v87, v91, v81
	;;#ASMEND
	;;#ASMSTART
	v_dot2_f32_f16 v81, v88, v92, v81
	;;#ASMEND
	s_waitcnt lgkmcnt(5)
	;;#ASMSTART
	v_dot2_f32_f16 v77, v85, v93, v77
	;;#ASMEND
	;;#ASMSTART
	v_dot2_f32_f16 v77, v86, v94, v77
	;;#ASMEND
	;;#ASMSTART
	v_dot2_f32_f16 v77, v87, v95, v77
	;;#ASMEND
	;;#ASMSTART
	v_dot2_f32_f16 v77, v88, v96, v77
	;;#ASMEND
	s_waitcnt lgkmcnt(4)
	;;#ASMSTART
	v_dot2_f32_f16 v73, v85, v97, v73
	;;#ASMEND
	;;#ASMSTART
	v_dot2_f32_f16 v73, v86, v98, v73
	;;#ASMEND
	;;#ASMSTART
	v_dot2_f32_f16 v73, v87, v99, v73
	;;#ASMEND
	;;#ASMSTART
	v_dot2_f32_f16 v73, v88, v100, v73
	;;#ASMEND
	s_waitcnt lgkmcnt(3)
	;;#ASMSTART
	v_dot2_f32_f16 v69, v85, v101, v69
	;;#ASMEND
	;;#ASMSTART
	v_dot2_f32_f16 v69, v86, v102, v69
	;;#ASMEND
	;;#ASMSTART
	v_dot2_f32_f16 v69, v87, v103, v69
	;;#ASMEND
	;;#ASMSTART
	v_dot2_f32_f16 v69, v88, v104, v69
	;;#ASMEND
	s_waitcnt lgkmcnt(2)
	;;#ASMSTART
	v_dot2_f32_f16 v82, v105, v89, v82
	;;#ASMEND
	;;#ASMSTART
	v_dot2_f32_f16 v82, v106, v90, v82
	;;#ASMEND
	;;#ASMSTART
	v_dot2_f32_f16 v82, v107, v91, v82
	;;#ASMEND
	;;#ASMSTART
	v_dot2_f32_f16 v82, v108, v92, v82
	;;#ASMEND
	;;#ASMSTART
	v_dot2_f32_f16 v78, v105, v93, v78
	;;#ASMEND
	;;#ASMSTART
	v_dot2_f32_f16 v78, v106, v94, v78
	;;#ASMEND
	;; [unrolled: 3-line block ×12, first 2 shown]
	s_waitcnt lgkmcnt(1)
	;;#ASMSTART
	v_dot2_f32_f16 v83, v109, v89, v83
	;;#ASMEND
	;;#ASMSTART
	v_dot2_f32_f16 v83, v110, v90, v83
	;;#ASMEND
	;; [unrolled: 3-line block ×16, first 2 shown]
	s_waitcnt lgkmcnt(0)
	;;#ASMSTART
	v_dot2_f32_f16 v84, v113, v89, v84
	;;#ASMEND
	;;#ASMSTART
	v_dot2_f32_f16 v84, v114, v90, v84
	;;#ASMEND
	;; [unrolled: 3-line block ×16, first 2 shown]
	ds_load_b128 v[85:88], v40 offset:20528
	ds_load_b128 v[89:92], v41 offset:304
	;; [unrolled: 1-line block ×8, first 2 shown]
	s_waitcnt lgkmcnt(6)
	;;#ASMSTART
	v_dot2_f32_f16 v81, v85, v89, v81
	;;#ASMEND
	;;#ASMSTART
	v_dot2_f32_f16 v81, v86, v90, v81
	;;#ASMEND
	;;#ASMSTART
	v_dot2_f32_f16 v81, v87, v91, v81
	;;#ASMEND
	;;#ASMSTART
	v_dot2_f32_f16 v81, v88, v92, v81
	;;#ASMEND
	s_waitcnt lgkmcnt(5)
	;;#ASMSTART
	v_dot2_f32_f16 v77, v85, v93, v77
	;;#ASMEND
	;;#ASMSTART
	v_dot2_f32_f16 v77, v86, v94, v77
	;;#ASMEND
	;;#ASMSTART
	v_dot2_f32_f16 v77, v87, v95, v77
	;;#ASMEND
	;;#ASMSTART
	v_dot2_f32_f16 v77, v88, v96, v77
	;;#ASMEND
	;; [unrolled: 13-line block ×5, first 2 shown]
	;;#ASMSTART
	v_dot2_f32_f16 v78, v105, v93, v78
	;;#ASMEND
	;;#ASMSTART
	v_dot2_f32_f16 v78, v106, v94, v78
	;;#ASMEND
	;; [unrolled: 3-line block ×12, first 2 shown]
	s_waitcnt lgkmcnt(1)
	;;#ASMSTART
	v_dot2_f32_f16 v83, v109, v89, v83
	;;#ASMEND
	;;#ASMSTART
	v_dot2_f32_f16 v83, v110, v90, v83
	;;#ASMEND
	;; [unrolled: 3-line block ×16, first 2 shown]
	s_waitcnt lgkmcnt(0)
	;;#ASMSTART
	v_dot2_f32_f16 v84, v113, v89, v84
	;;#ASMEND
	;;#ASMSTART
	v_dot2_f32_f16 v84, v114, v90, v84
	;;#ASMEND
	;; [unrolled: 3-line block ×16, first 2 shown]
	ds_load_b128 v[85:88], v40 offset:20544
	ds_load_b128 v[89:92], v41 offset:320
	;; [unrolled: 1-line block ×8, first 2 shown]
	s_waitcnt lgkmcnt(6)
	;;#ASMSTART
	v_dot2_f32_f16 v81, v85, v89, v81
	;;#ASMEND
	;;#ASMSTART
	v_dot2_f32_f16 v81, v86, v90, v81
	;;#ASMEND
	;;#ASMSTART
	v_dot2_f32_f16 v81, v87, v91, v81
	;;#ASMEND
	;;#ASMSTART
	v_dot2_f32_f16 v81, v88, v92, v81
	;;#ASMEND
	s_waitcnt lgkmcnt(5)
	;;#ASMSTART
	v_dot2_f32_f16 v77, v85, v93, v77
	;;#ASMEND
	;;#ASMSTART
	v_dot2_f32_f16 v77, v86, v94, v77
	;;#ASMEND
	;;#ASMSTART
	v_dot2_f32_f16 v77, v87, v95, v77
	;;#ASMEND
	;;#ASMSTART
	v_dot2_f32_f16 v77, v88, v96, v77
	;;#ASMEND
	;; [unrolled: 13-line block ×5, first 2 shown]
	;;#ASMSTART
	v_dot2_f32_f16 v78, v105, v93, v78
	;;#ASMEND
	;;#ASMSTART
	v_dot2_f32_f16 v78, v106, v94, v78
	;;#ASMEND
	;; [unrolled: 3-line block ×12, first 2 shown]
	s_waitcnt lgkmcnt(1)
	;;#ASMSTART
	v_dot2_f32_f16 v83, v109, v89, v83
	;;#ASMEND
	;;#ASMSTART
	v_dot2_f32_f16 v83, v110, v90, v83
	;;#ASMEND
	;; [unrolled: 3-line block ×16, first 2 shown]
	s_waitcnt lgkmcnt(0)
	;;#ASMSTART
	v_dot2_f32_f16 v84, v113, v89, v84
	;;#ASMEND
	;;#ASMSTART
	v_dot2_f32_f16 v84, v114, v90, v84
	;;#ASMEND
	;; [unrolled: 3-line block ×16, first 2 shown]
	ds_load_b128 v[85:88], v40 offset:20560
	ds_load_b128 v[89:92], v41 offset:336
	;; [unrolled: 1-line block ×8, first 2 shown]
	s_waitcnt lgkmcnt(6)
	;;#ASMSTART
	v_dot2_f32_f16 v81, v85, v89, v81
	;;#ASMEND
	;;#ASMSTART
	v_dot2_f32_f16 v81, v86, v90, v81
	;;#ASMEND
	;;#ASMSTART
	v_dot2_f32_f16 v81, v87, v91, v81
	;;#ASMEND
	;;#ASMSTART
	v_dot2_f32_f16 v81, v88, v92, v81
	;;#ASMEND
	s_waitcnt lgkmcnt(5)
	;;#ASMSTART
	v_dot2_f32_f16 v77, v85, v93, v77
	;;#ASMEND
	;;#ASMSTART
	v_dot2_f32_f16 v77, v86, v94, v77
	;;#ASMEND
	;;#ASMSTART
	v_dot2_f32_f16 v77, v87, v95, v77
	;;#ASMEND
	;;#ASMSTART
	v_dot2_f32_f16 v77, v88, v96, v77
	;;#ASMEND
	;; [unrolled: 13-line block ×5, first 2 shown]
	;;#ASMSTART
	v_dot2_f32_f16 v78, v105, v93, v78
	;;#ASMEND
	;;#ASMSTART
	v_dot2_f32_f16 v78, v106, v94, v78
	;;#ASMEND
	;; [unrolled: 3-line block ×12, first 2 shown]
	s_waitcnt lgkmcnt(1)
	;;#ASMSTART
	v_dot2_f32_f16 v83, v109, v89, v83
	;;#ASMEND
	;;#ASMSTART
	v_dot2_f32_f16 v83, v110, v90, v83
	;;#ASMEND
	;; [unrolled: 3-line block ×16, first 2 shown]
	s_waitcnt lgkmcnt(0)
	;;#ASMSTART
	v_dot2_f32_f16 v84, v113, v89, v84
	;;#ASMEND
	;;#ASMSTART
	v_dot2_f32_f16 v84, v114, v90, v84
	;;#ASMEND
	;;#ASMSTART
	v_dot2_f32_f16 v84, v115, v91, v84
	;;#ASMEND
	;;#ASMSTART
	v_dot2_f32_f16 v84, v116, v92, v84
	;;#ASMEND
	;;#ASMSTART
	v_dot2_f32_f16 v80, v113, v93, v80
	;;#ASMEND
	;;#ASMSTART
	v_dot2_f32_f16 v80, v114, v94, v80
	;;#ASMEND
	;;#ASMSTART
	v_dot2_f32_f16 v80, v115, v95, v80
	;;#ASMEND
	;;#ASMSTART
	v_dot2_f32_f16 v80, v116, v96, v80
	;;#ASMEND
	;;#ASMSTART
	v_dot2_f32_f16 v76, v113, v97, v76
	;;#ASMEND
	;;#ASMSTART
	v_dot2_f32_f16 v76, v114, v98, v76
	;;#ASMEND
	;;#ASMSTART
	v_dot2_f32_f16 v76, v115, v99, v76
	;;#ASMEND
	;;#ASMSTART
	v_dot2_f32_f16 v76, v116, v100, v76
	;;#ASMEND
	;;#ASMSTART
	v_dot2_f32_f16 v72, v113, v101, v72
	;;#ASMEND
	;;#ASMSTART
	v_dot2_f32_f16 v72, v114, v102, v72
	;;#ASMEND
	;;#ASMSTART
	v_dot2_f32_f16 v72, v115, v103, v72
	;;#ASMEND
	;;#ASMSTART
	v_dot2_f32_f16 v72, v116, v104, v72
	;;#ASMEND
	ds_load_b128 v[85:88], v40 offset:20576
	ds_load_b128 v[89:92], v41 offset:352
	;; [unrolled: 1-line block ×8, first 2 shown]
	s_waitcnt lgkmcnt(6)
	;;#ASMSTART
	v_dot2_f32_f16 v81, v85, v89, v81
	;;#ASMEND
	;;#ASMSTART
	v_dot2_f32_f16 v81, v86, v90, v81
	;;#ASMEND
	;;#ASMSTART
	v_dot2_f32_f16 v81, v87, v91, v81
	;;#ASMEND
	;;#ASMSTART
	v_dot2_f32_f16 v81, v88, v92, v81
	;;#ASMEND
	s_waitcnt lgkmcnt(5)
	;;#ASMSTART
	v_dot2_f32_f16 v77, v85, v93, v77
	;;#ASMEND
	;;#ASMSTART
	v_dot2_f32_f16 v77, v86, v94, v77
	;;#ASMEND
	;;#ASMSTART
	v_dot2_f32_f16 v77, v87, v95, v77
	;;#ASMEND
	;;#ASMSTART
	v_dot2_f32_f16 v77, v88, v96, v77
	;;#ASMEND
	;; [unrolled: 13-line block ×5, first 2 shown]
	;;#ASMSTART
	v_dot2_f32_f16 v78, v105, v93, v78
	;;#ASMEND
	;;#ASMSTART
	v_dot2_f32_f16 v78, v106, v94, v78
	;;#ASMEND
	;; [unrolled: 3-line block ×12, first 2 shown]
	s_waitcnt lgkmcnt(1)
	;;#ASMSTART
	v_dot2_f32_f16 v83, v109, v89, v83
	;;#ASMEND
	;;#ASMSTART
	v_dot2_f32_f16 v83, v110, v90, v83
	;;#ASMEND
	;; [unrolled: 3-line block ×16, first 2 shown]
	s_waitcnt lgkmcnt(0)
	;;#ASMSTART
	v_dot2_f32_f16 v84, v113, v89, v84
	;;#ASMEND
	;;#ASMSTART
	v_dot2_f32_f16 v84, v114, v90, v84
	;;#ASMEND
	;; [unrolled: 3-line block ×16, first 2 shown]
	ds_load_b128 v[85:88], v40 offset:20592
	ds_load_b128 v[89:92], v41 offset:368
	;; [unrolled: 1-line block ×8, first 2 shown]
	s_waitcnt lgkmcnt(6)
	;;#ASMSTART
	v_dot2_f32_f16 v81, v85, v89, v81
	;;#ASMEND
	;;#ASMSTART
	v_dot2_f32_f16 v81, v86, v90, v81
	;;#ASMEND
	;;#ASMSTART
	v_dot2_f32_f16 v81, v87, v91, v81
	;;#ASMEND
	;;#ASMSTART
	v_dot2_f32_f16 v81, v88, v92, v81
	;;#ASMEND
	s_waitcnt lgkmcnt(5)
	;;#ASMSTART
	v_dot2_f32_f16 v77, v85, v93, v77
	;;#ASMEND
	;;#ASMSTART
	v_dot2_f32_f16 v77, v86, v94, v77
	;;#ASMEND
	;;#ASMSTART
	v_dot2_f32_f16 v77, v87, v95, v77
	;;#ASMEND
	;;#ASMSTART
	v_dot2_f32_f16 v77, v88, v96, v77
	;;#ASMEND
	;; [unrolled: 13-line block ×5, first 2 shown]
	;;#ASMSTART
	v_dot2_f32_f16 v78, v105, v93, v78
	;;#ASMEND
	;;#ASMSTART
	v_dot2_f32_f16 v78, v106, v94, v78
	;;#ASMEND
	;; [unrolled: 3-line block ×12, first 2 shown]
	s_waitcnt lgkmcnt(1)
	;;#ASMSTART
	v_dot2_f32_f16 v83, v109, v89, v83
	;;#ASMEND
	;;#ASMSTART
	v_dot2_f32_f16 v83, v110, v90, v83
	;;#ASMEND
	;; [unrolled: 3-line block ×16, first 2 shown]
	s_waitcnt lgkmcnt(0)
	;;#ASMSTART
	v_dot2_f32_f16 v84, v113, v89, v84
	;;#ASMEND
	;;#ASMSTART
	v_dot2_f32_f16 v84, v114, v90, v84
	;;#ASMEND
	;; [unrolled: 3-line block ×16, first 2 shown]
	s_barrier
	buffer_gl0_inv
	s_clause 0x3
	global_load_b128 v[85:88], v[0:1], off offset:384
	global_load_b128 v[89:92], v[2:3], off offset:384
	;; [unrolled: 1-line block ×4, first 2 shown]
	s_waitcnt vmcnt(3)
	ds_store_b128 v35, v[85:88]
	s_waitcnt vmcnt(2)
	ds_store_b128 v36, v[89:92]
	;; [unrolled: 2-line block ×4, first 2 shown]
	s_waitcnt lgkmcnt(0)
	s_barrier
	buffer_gl0_inv
	ds_load_b128 v[85:88], v40 offset:20480
	ds_load_b128 v[89:92], v41 offset:384
	;; [unrolled: 1-line block ×8, first 2 shown]
	s_waitcnt lgkmcnt(6)
	;;#ASMSTART
	v_dot2_f32_f16 v81, v85, v89, v81
	;;#ASMEND
	;;#ASMSTART
	v_dot2_f32_f16 v81, v86, v90, v81
	;;#ASMEND
	;;#ASMSTART
	v_dot2_f32_f16 v81, v87, v91, v81
	;;#ASMEND
	;;#ASMSTART
	v_dot2_f32_f16 v81, v88, v92, v81
	;;#ASMEND
	s_waitcnt lgkmcnt(5)
	;;#ASMSTART
	v_dot2_f32_f16 v77, v85, v93, v77
	;;#ASMEND
	;;#ASMSTART
	v_dot2_f32_f16 v77, v86, v94, v77
	;;#ASMEND
	;;#ASMSTART
	v_dot2_f32_f16 v77, v87, v95, v77
	;;#ASMEND
	;;#ASMSTART
	v_dot2_f32_f16 v77, v88, v96, v77
	;;#ASMEND
	;; [unrolled: 13-line block ×5, first 2 shown]
	;;#ASMSTART
	v_dot2_f32_f16 v78, v105, v93, v78
	;;#ASMEND
	;;#ASMSTART
	v_dot2_f32_f16 v78, v106, v94, v78
	;;#ASMEND
	;; [unrolled: 3-line block ×12, first 2 shown]
	s_waitcnt lgkmcnt(1)
	;;#ASMSTART
	v_dot2_f32_f16 v83, v109, v89, v83
	;;#ASMEND
	;;#ASMSTART
	v_dot2_f32_f16 v83, v110, v90, v83
	;;#ASMEND
	;; [unrolled: 3-line block ×16, first 2 shown]
	s_waitcnt lgkmcnt(0)
	;;#ASMSTART
	v_dot2_f32_f16 v84, v113, v89, v84
	;;#ASMEND
	;;#ASMSTART
	v_dot2_f32_f16 v84, v114, v90, v84
	;;#ASMEND
	;; [unrolled: 3-line block ×16, first 2 shown]
	ds_load_b128 v[85:88], v40 offset:20496
	ds_load_b128 v[89:92], v41 offset:400
	;; [unrolled: 1-line block ×8, first 2 shown]
	s_waitcnt lgkmcnt(6)
	;;#ASMSTART
	v_dot2_f32_f16 v81, v85, v89, v81
	;;#ASMEND
	;;#ASMSTART
	v_dot2_f32_f16 v81, v86, v90, v81
	;;#ASMEND
	;;#ASMSTART
	v_dot2_f32_f16 v81, v87, v91, v81
	;;#ASMEND
	;;#ASMSTART
	v_dot2_f32_f16 v81, v88, v92, v81
	;;#ASMEND
	s_waitcnt lgkmcnt(5)
	;;#ASMSTART
	v_dot2_f32_f16 v77, v85, v93, v77
	;;#ASMEND
	;;#ASMSTART
	v_dot2_f32_f16 v77, v86, v94, v77
	;;#ASMEND
	;;#ASMSTART
	v_dot2_f32_f16 v77, v87, v95, v77
	;;#ASMEND
	;;#ASMSTART
	v_dot2_f32_f16 v77, v88, v96, v77
	;;#ASMEND
	;; [unrolled: 13-line block ×5, first 2 shown]
	;;#ASMSTART
	v_dot2_f32_f16 v78, v105, v93, v78
	;;#ASMEND
	;;#ASMSTART
	v_dot2_f32_f16 v78, v106, v94, v78
	;;#ASMEND
	;; [unrolled: 3-line block ×12, first 2 shown]
	s_waitcnt lgkmcnt(1)
	;;#ASMSTART
	v_dot2_f32_f16 v83, v109, v89, v83
	;;#ASMEND
	;;#ASMSTART
	v_dot2_f32_f16 v83, v110, v90, v83
	;;#ASMEND
	;; [unrolled: 3-line block ×16, first 2 shown]
	s_waitcnt lgkmcnt(0)
	;;#ASMSTART
	v_dot2_f32_f16 v84, v113, v89, v84
	;;#ASMEND
	;;#ASMSTART
	v_dot2_f32_f16 v84, v114, v90, v84
	;;#ASMEND
	;; [unrolled: 3-line block ×16, first 2 shown]
	ds_load_b128 v[85:88], v40 offset:20512
	ds_load_b128 v[89:92], v41 offset:416
	;; [unrolled: 1-line block ×8, first 2 shown]
	s_waitcnt lgkmcnt(6)
	;;#ASMSTART
	v_dot2_f32_f16 v81, v85, v89, v81
	;;#ASMEND
	;;#ASMSTART
	v_dot2_f32_f16 v81, v86, v90, v81
	;;#ASMEND
	;;#ASMSTART
	v_dot2_f32_f16 v81, v87, v91, v81
	;;#ASMEND
	;;#ASMSTART
	v_dot2_f32_f16 v81, v88, v92, v81
	;;#ASMEND
	s_waitcnt lgkmcnt(5)
	;;#ASMSTART
	v_dot2_f32_f16 v77, v85, v93, v77
	;;#ASMEND
	;;#ASMSTART
	v_dot2_f32_f16 v77, v86, v94, v77
	;;#ASMEND
	;;#ASMSTART
	v_dot2_f32_f16 v77, v87, v95, v77
	;;#ASMEND
	;;#ASMSTART
	v_dot2_f32_f16 v77, v88, v96, v77
	;;#ASMEND
	;; [unrolled: 13-line block ×5, first 2 shown]
	;;#ASMSTART
	v_dot2_f32_f16 v78, v105, v93, v78
	;;#ASMEND
	;;#ASMSTART
	v_dot2_f32_f16 v78, v106, v94, v78
	;;#ASMEND
	;; [unrolled: 3-line block ×12, first 2 shown]
	s_waitcnt lgkmcnt(1)
	;;#ASMSTART
	v_dot2_f32_f16 v83, v109, v89, v83
	;;#ASMEND
	;;#ASMSTART
	v_dot2_f32_f16 v83, v110, v90, v83
	;;#ASMEND
	;;#ASMSTART
	v_dot2_f32_f16 v83, v111, v91, v83
	;;#ASMEND
	;;#ASMSTART
	v_dot2_f32_f16 v83, v112, v92, v83
	;;#ASMEND
	;;#ASMSTART
	v_dot2_f32_f16 v79, v109, v93, v79
	;;#ASMEND
	;;#ASMSTART
	v_dot2_f32_f16 v79, v110, v94, v79
	;;#ASMEND
	;;#ASMSTART
	v_dot2_f32_f16 v79, v111, v95, v79
	;;#ASMEND
	;;#ASMSTART
	v_dot2_f32_f16 v79, v112, v96, v79
	;;#ASMEND
	;;#ASMSTART
	v_dot2_f32_f16 v75, v109, v97, v75
	;;#ASMEND
	;;#ASMSTART
	v_dot2_f32_f16 v75, v110, v98, v75
	;;#ASMEND
	;;#ASMSTART
	v_dot2_f32_f16 v75, v111, v99, v75
	;;#ASMEND
	;;#ASMSTART
	v_dot2_f32_f16 v75, v112, v100, v75
	;;#ASMEND
	;;#ASMSTART
	v_dot2_f32_f16 v71, v109, v101, v71
	;;#ASMEND
	;;#ASMSTART
	v_dot2_f32_f16 v71, v110, v102, v71
	;;#ASMEND
	;;#ASMSTART
	v_dot2_f32_f16 v71, v111, v103, v71
	;;#ASMEND
	;;#ASMSTART
	v_dot2_f32_f16 v71, v112, v104, v71
	;;#ASMEND
	s_waitcnt lgkmcnt(0)
	;;#ASMSTART
	v_dot2_f32_f16 v84, v113, v89, v84
	;;#ASMEND
	;;#ASMSTART
	v_dot2_f32_f16 v84, v114, v90, v84
	;;#ASMEND
	;; [unrolled: 3-line block ×16, first 2 shown]
	ds_load_b128 v[85:88], v40 offset:20528
	ds_load_b128 v[89:92], v41 offset:432
	;; [unrolled: 1-line block ×8, first 2 shown]
	s_waitcnt lgkmcnt(6)
	;;#ASMSTART
	v_dot2_f32_f16 v81, v85, v89, v81
	;;#ASMEND
	;;#ASMSTART
	v_dot2_f32_f16 v81, v86, v90, v81
	;;#ASMEND
	;;#ASMSTART
	v_dot2_f32_f16 v81, v87, v91, v81
	;;#ASMEND
	;;#ASMSTART
	v_dot2_f32_f16 v81, v88, v92, v81
	;;#ASMEND
	s_waitcnt lgkmcnt(5)
	;;#ASMSTART
	v_dot2_f32_f16 v77, v85, v93, v77
	;;#ASMEND
	;;#ASMSTART
	v_dot2_f32_f16 v77, v86, v94, v77
	;;#ASMEND
	;;#ASMSTART
	v_dot2_f32_f16 v77, v87, v95, v77
	;;#ASMEND
	;;#ASMSTART
	v_dot2_f32_f16 v77, v88, v96, v77
	;;#ASMEND
	;; [unrolled: 13-line block ×5, first 2 shown]
	;;#ASMSTART
	v_dot2_f32_f16 v78, v105, v93, v78
	;;#ASMEND
	;;#ASMSTART
	v_dot2_f32_f16 v78, v106, v94, v78
	;;#ASMEND
	;; [unrolled: 3-line block ×12, first 2 shown]
	s_waitcnt lgkmcnt(1)
	;;#ASMSTART
	v_dot2_f32_f16 v83, v109, v89, v83
	;;#ASMEND
	;;#ASMSTART
	v_dot2_f32_f16 v83, v110, v90, v83
	;;#ASMEND
	;;#ASMSTART
	v_dot2_f32_f16 v83, v111, v91, v83
	;;#ASMEND
	;;#ASMSTART
	v_dot2_f32_f16 v83, v112, v92, v83
	;;#ASMEND
	;;#ASMSTART
	v_dot2_f32_f16 v79, v109, v93, v79
	;;#ASMEND
	;;#ASMSTART
	v_dot2_f32_f16 v79, v110, v94, v79
	;;#ASMEND
	;;#ASMSTART
	v_dot2_f32_f16 v79, v111, v95, v79
	;;#ASMEND
	;;#ASMSTART
	v_dot2_f32_f16 v79, v112, v96, v79
	;;#ASMEND
	;;#ASMSTART
	v_dot2_f32_f16 v75, v109, v97, v75
	;;#ASMEND
	;;#ASMSTART
	v_dot2_f32_f16 v75, v110, v98, v75
	;;#ASMEND
	;;#ASMSTART
	v_dot2_f32_f16 v75, v111, v99, v75
	;;#ASMEND
	;;#ASMSTART
	v_dot2_f32_f16 v75, v112, v100, v75
	;;#ASMEND
	;;#ASMSTART
	v_dot2_f32_f16 v71, v109, v101, v71
	;;#ASMEND
	;;#ASMSTART
	v_dot2_f32_f16 v71, v110, v102, v71
	;;#ASMEND
	;;#ASMSTART
	v_dot2_f32_f16 v71, v111, v103, v71
	;;#ASMEND
	;;#ASMSTART
	v_dot2_f32_f16 v71, v112, v104, v71
	;;#ASMEND
	s_waitcnt lgkmcnt(0)
	;;#ASMSTART
	v_dot2_f32_f16 v84, v113, v89, v84
	;;#ASMEND
	;;#ASMSTART
	v_dot2_f32_f16 v84, v114, v90, v84
	;;#ASMEND
	;; [unrolled: 3-line block ×16, first 2 shown]
	ds_load_b128 v[85:88], v40 offset:20544
	ds_load_b128 v[89:92], v41 offset:448
	;; [unrolled: 1-line block ×8, first 2 shown]
	s_waitcnt lgkmcnt(6)
	;;#ASMSTART
	v_dot2_f32_f16 v81, v85, v89, v81
	;;#ASMEND
	;;#ASMSTART
	v_dot2_f32_f16 v81, v86, v90, v81
	;;#ASMEND
	;;#ASMSTART
	v_dot2_f32_f16 v81, v87, v91, v81
	;;#ASMEND
	;;#ASMSTART
	v_dot2_f32_f16 v81, v88, v92, v81
	;;#ASMEND
	s_waitcnt lgkmcnt(5)
	;;#ASMSTART
	v_dot2_f32_f16 v77, v85, v93, v77
	;;#ASMEND
	;;#ASMSTART
	v_dot2_f32_f16 v77, v86, v94, v77
	;;#ASMEND
	;;#ASMSTART
	v_dot2_f32_f16 v77, v87, v95, v77
	;;#ASMEND
	;;#ASMSTART
	v_dot2_f32_f16 v77, v88, v96, v77
	;;#ASMEND
	;; [unrolled: 13-line block ×5, first 2 shown]
	;;#ASMSTART
	v_dot2_f32_f16 v78, v105, v93, v78
	;;#ASMEND
	;;#ASMSTART
	v_dot2_f32_f16 v78, v106, v94, v78
	;;#ASMEND
	;; [unrolled: 3-line block ×12, first 2 shown]
	s_waitcnt lgkmcnt(1)
	;;#ASMSTART
	v_dot2_f32_f16 v83, v109, v89, v83
	;;#ASMEND
	;;#ASMSTART
	v_dot2_f32_f16 v83, v110, v90, v83
	;;#ASMEND
	;;#ASMSTART
	v_dot2_f32_f16 v83, v111, v91, v83
	;;#ASMEND
	;;#ASMSTART
	v_dot2_f32_f16 v83, v112, v92, v83
	;;#ASMEND
	;;#ASMSTART
	v_dot2_f32_f16 v79, v109, v93, v79
	;;#ASMEND
	;;#ASMSTART
	v_dot2_f32_f16 v79, v110, v94, v79
	;;#ASMEND
	;;#ASMSTART
	v_dot2_f32_f16 v79, v111, v95, v79
	;;#ASMEND
	;;#ASMSTART
	v_dot2_f32_f16 v79, v112, v96, v79
	;;#ASMEND
	;;#ASMSTART
	v_dot2_f32_f16 v75, v109, v97, v75
	;;#ASMEND
	;;#ASMSTART
	v_dot2_f32_f16 v75, v110, v98, v75
	;;#ASMEND
	;;#ASMSTART
	v_dot2_f32_f16 v75, v111, v99, v75
	;;#ASMEND
	;;#ASMSTART
	v_dot2_f32_f16 v75, v112, v100, v75
	;;#ASMEND
	;;#ASMSTART
	v_dot2_f32_f16 v71, v109, v101, v71
	;;#ASMEND
	;;#ASMSTART
	v_dot2_f32_f16 v71, v110, v102, v71
	;;#ASMEND
	;;#ASMSTART
	v_dot2_f32_f16 v71, v111, v103, v71
	;;#ASMEND
	;;#ASMSTART
	v_dot2_f32_f16 v71, v112, v104, v71
	;;#ASMEND
	s_waitcnt lgkmcnt(0)
	;;#ASMSTART
	v_dot2_f32_f16 v84, v113, v89, v84
	;;#ASMEND
	;;#ASMSTART
	v_dot2_f32_f16 v84, v114, v90, v84
	;;#ASMEND
	;; [unrolled: 3-line block ×16, first 2 shown]
	ds_load_b128 v[85:88], v40 offset:20560
	ds_load_b128 v[89:92], v41 offset:464
	;; [unrolled: 1-line block ×8, first 2 shown]
	s_waitcnt lgkmcnt(6)
	;;#ASMSTART
	v_dot2_f32_f16 v81, v85, v89, v81
	;;#ASMEND
	;;#ASMSTART
	v_dot2_f32_f16 v81, v86, v90, v81
	;;#ASMEND
	;;#ASMSTART
	v_dot2_f32_f16 v81, v87, v91, v81
	;;#ASMEND
	;;#ASMSTART
	v_dot2_f32_f16 v81, v88, v92, v81
	;;#ASMEND
	s_waitcnt lgkmcnt(5)
	;;#ASMSTART
	v_dot2_f32_f16 v77, v85, v93, v77
	;;#ASMEND
	;;#ASMSTART
	v_dot2_f32_f16 v77, v86, v94, v77
	;;#ASMEND
	;;#ASMSTART
	v_dot2_f32_f16 v77, v87, v95, v77
	;;#ASMEND
	;;#ASMSTART
	v_dot2_f32_f16 v77, v88, v96, v77
	;;#ASMEND
	s_waitcnt lgkmcnt(4)
	;;#ASMSTART
	v_dot2_f32_f16 v73, v85, v97, v73
	;;#ASMEND
	;;#ASMSTART
	v_dot2_f32_f16 v73, v86, v98, v73
	;;#ASMEND
	;;#ASMSTART
	v_dot2_f32_f16 v73, v87, v99, v73
	;;#ASMEND
	;;#ASMSTART
	v_dot2_f32_f16 v73, v88, v100, v73
	;;#ASMEND
	s_waitcnt lgkmcnt(3)
	;;#ASMSTART
	v_dot2_f32_f16 v69, v85, v101, v69
	;;#ASMEND
	;;#ASMSTART
	v_dot2_f32_f16 v69, v86, v102, v69
	;;#ASMEND
	;;#ASMSTART
	v_dot2_f32_f16 v69, v87, v103, v69
	;;#ASMEND
	;;#ASMSTART
	v_dot2_f32_f16 v69, v88, v104, v69
	;;#ASMEND
	s_waitcnt lgkmcnt(2)
	;;#ASMSTART
	v_dot2_f32_f16 v82, v105, v89, v82
	;;#ASMEND
	;;#ASMSTART
	v_dot2_f32_f16 v82, v106, v90, v82
	;;#ASMEND
	;;#ASMSTART
	v_dot2_f32_f16 v82, v107, v91, v82
	;;#ASMEND
	;;#ASMSTART
	v_dot2_f32_f16 v82, v108, v92, v82
	;;#ASMEND
	;;#ASMSTART
	v_dot2_f32_f16 v78, v105, v93, v78
	;;#ASMEND
	;;#ASMSTART
	v_dot2_f32_f16 v78, v106, v94, v78
	;;#ASMEND
	;; [unrolled: 3-line block ×12, first 2 shown]
	s_waitcnt lgkmcnt(1)
	;;#ASMSTART
	v_dot2_f32_f16 v83, v109, v89, v83
	;;#ASMEND
	;;#ASMSTART
	v_dot2_f32_f16 v83, v110, v90, v83
	;;#ASMEND
	;;#ASMSTART
	v_dot2_f32_f16 v83, v111, v91, v83
	;;#ASMEND
	;;#ASMSTART
	v_dot2_f32_f16 v83, v112, v92, v83
	;;#ASMEND
	;;#ASMSTART
	v_dot2_f32_f16 v79, v109, v93, v79
	;;#ASMEND
	;;#ASMSTART
	v_dot2_f32_f16 v79, v110, v94, v79
	;;#ASMEND
	;;#ASMSTART
	v_dot2_f32_f16 v79, v111, v95, v79
	;;#ASMEND
	;;#ASMSTART
	v_dot2_f32_f16 v79, v112, v96, v79
	;;#ASMEND
	;;#ASMSTART
	v_dot2_f32_f16 v75, v109, v97, v75
	;;#ASMEND
	;;#ASMSTART
	v_dot2_f32_f16 v75, v110, v98, v75
	;;#ASMEND
	;;#ASMSTART
	v_dot2_f32_f16 v75, v111, v99, v75
	;;#ASMEND
	;;#ASMSTART
	v_dot2_f32_f16 v75, v112, v100, v75
	;;#ASMEND
	;;#ASMSTART
	v_dot2_f32_f16 v71, v109, v101, v71
	;;#ASMEND
	;;#ASMSTART
	v_dot2_f32_f16 v71, v110, v102, v71
	;;#ASMEND
	;;#ASMSTART
	v_dot2_f32_f16 v71, v111, v103, v71
	;;#ASMEND
	;;#ASMSTART
	v_dot2_f32_f16 v71, v112, v104, v71
	;;#ASMEND
	s_waitcnt lgkmcnt(0)
	;;#ASMSTART
	v_dot2_f32_f16 v84, v113, v89, v84
	;;#ASMEND
	;;#ASMSTART
	v_dot2_f32_f16 v84, v114, v90, v84
	;;#ASMEND
	;; [unrolled: 3-line block ×16, first 2 shown]
	ds_load_b128 v[85:88], v40 offset:20576
	ds_load_b128 v[89:92], v41 offset:480
	;; [unrolled: 1-line block ×8, first 2 shown]
	s_waitcnt lgkmcnt(6)
	;;#ASMSTART
	v_dot2_f32_f16 v81, v85, v89, v81
	;;#ASMEND
	;;#ASMSTART
	v_dot2_f32_f16 v81, v86, v90, v81
	;;#ASMEND
	;;#ASMSTART
	v_dot2_f32_f16 v81, v87, v91, v81
	;;#ASMEND
	;;#ASMSTART
	v_dot2_f32_f16 v81, v88, v92, v81
	;;#ASMEND
	s_waitcnt lgkmcnt(5)
	;;#ASMSTART
	v_dot2_f32_f16 v77, v85, v93, v77
	;;#ASMEND
	;;#ASMSTART
	v_dot2_f32_f16 v77, v86, v94, v77
	;;#ASMEND
	;;#ASMSTART
	v_dot2_f32_f16 v77, v87, v95, v77
	;;#ASMEND
	;;#ASMSTART
	v_dot2_f32_f16 v77, v88, v96, v77
	;;#ASMEND
	;; [unrolled: 13-line block ×5, first 2 shown]
	;;#ASMSTART
	v_dot2_f32_f16 v78, v105, v93, v78
	;;#ASMEND
	;;#ASMSTART
	v_dot2_f32_f16 v78, v106, v94, v78
	;;#ASMEND
	;; [unrolled: 3-line block ×12, first 2 shown]
	s_waitcnt lgkmcnt(1)
	;;#ASMSTART
	v_dot2_f32_f16 v83, v109, v89, v83
	;;#ASMEND
	;;#ASMSTART
	v_dot2_f32_f16 v83, v110, v90, v83
	;;#ASMEND
	;; [unrolled: 3-line block ×16, first 2 shown]
	s_waitcnt lgkmcnt(0)
	;;#ASMSTART
	v_dot2_f32_f16 v84, v113, v89, v84
	;;#ASMEND
	;;#ASMSTART
	v_dot2_f32_f16 v84, v114, v90, v84
	;;#ASMEND
	;; [unrolled: 3-line block ×16, first 2 shown]
	ds_load_b128 v[85:88], v40 offset:20592
	ds_load_b128 v[89:92], v41 offset:496
	;; [unrolled: 1-line block ×8, first 2 shown]
	s_waitcnt lgkmcnt(6)
	;;#ASMSTART
	v_dot2_f32_f16 v81, v85, v89, v81
	;;#ASMEND
	;;#ASMSTART
	v_dot2_f32_f16 v81, v86, v90, v81
	;;#ASMEND
	;;#ASMSTART
	v_dot2_f32_f16 v81, v87, v91, v81
	;;#ASMEND
	;;#ASMSTART
	v_dot2_f32_f16 v81, v88, v92, v81
	;;#ASMEND
	s_waitcnt lgkmcnt(5)
	;;#ASMSTART
	v_dot2_f32_f16 v77, v85, v93, v77
	;;#ASMEND
	;;#ASMSTART
	v_dot2_f32_f16 v77, v86, v94, v77
	;;#ASMEND
	;;#ASMSTART
	v_dot2_f32_f16 v77, v87, v95, v77
	;;#ASMEND
	;;#ASMSTART
	v_dot2_f32_f16 v77, v88, v96, v77
	;;#ASMEND
	;; [unrolled: 13-line block ×5, first 2 shown]
	;;#ASMSTART
	v_dot2_f32_f16 v78, v105, v93, v78
	;;#ASMEND
	;;#ASMSTART
	v_dot2_f32_f16 v78, v106, v94, v78
	;;#ASMEND
	;; [unrolled: 3-line block ×12, first 2 shown]
	s_waitcnt lgkmcnt(1)
	;;#ASMSTART
	v_dot2_f32_f16 v83, v109, v89, v83
	;;#ASMEND
	;;#ASMSTART
	v_dot2_f32_f16 v83, v110, v90, v83
	;;#ASMEND
	;; [unrolled: 3-line block ×16, first 2 shown]
	s_waitcnt lgkmcnt(0)
	;;#ASMSTART
	v_dot2_f32_f16 v84, v113, v89, v84
	;;#ASMEND
	;;#ASMSTART
	v_dot2_f32_f16 v84, v114, v90, v84
	;;#ASMEND
	;; [unrolled: 3-line block ×16, first 2 shown]
	s_barrier
	buffer_gl0_inv
	s_clause 0x3
	global_load_b128 v[85:88], v[0:1], off offset:512
	global_load_b128 v[0:3], v[2:3], off offset:512
	;; [unrolled: 1-line block ×4, first 2 shown]
	s_waitcnt vmcnt(3)
	ds_store_b128 v35, v[85:88]
	s_waitcnt vmcnt(2)
	ds_store_b128 v36, v[0:3]
	;; [unrolled: 2-line block ×4, first 2 shown]
	s_waitcnt lgkmcnt(0)
	s_barrier
	buffer_gl0_inv
	ds_load_b128 v[0:3], v40 offset:20480
	ds_load_b128 v[4:7], v41 offset:512
	;; [unrolled: 1-line block ×8, first 2 shown]
	s_waitcnt lgkmcnt(6)
	;;#ASMSTART
	v_dot2_f32_f16 v81, v0, v4, v81
	;;#ASMEND
	;;#ASMSTART
	v_dot2_f32_f16 v81, v1, v5, v81
	;;#ASMEND
	;;#ASMSTART
	v_dot2_f32_f16 v81, v2, v6, v81
	;;#ASMEND
	;;#ASMSTART
	v_dot2_f32_f16 v81, v3, v7, v81
	;;#ASMEND
	s_waitcnt lgkmcnt(5)
	;;#ASMSTART
	v_dot2_f32_f16 v77, v0, v85, v77
	;;#ASMEND
	;;#ASMSTART
	v_dot2_f32_f16 v77, v1, v86, v77
	;;#ASMEND
	;;#ASMSTART
	v_dot2_f32_f16 v77, v2, v87, v77
	;;#ASMEND
	;;#ASMSTART
	v_dot2_f32_f16 v77, v3, v88, v77
	;;#ASMEND
	s_waitcnt lgkmcnt(4)
	;;#ASMSTART
	v_dot2_f32_f16 v73, v0, v89, v73
	;;#ASMEND
	;;#ASMSTART
	v_dot2_f32_f16 v73, v1, v90, v73
	;;#ASMEND
	;;#ASMSTART
	v_dot2_f32_f16 v73, v2, v91, v73
	;;#ASMEND
	;;#ASMSTART
	v_dot2_f32_f16 v73, v3, v92, v73
	;;#ASMEND
	s_waitcnt lgkmcnt(3)
	;;#ASMSTART
	v_dot2_f32_f16 v69, v0, v93, v69
	;;#ASMEND
	;;#ASMSTART
	v_dot2_f32_f16 v69, v1, v94, v69
	;;#ASMEND
	;;#ASMSTART
	v_dot2_f32_f16 v69, v2, v95, v69
	;;#ASMEND
	;;#ASMSTART
	v_dot2_f32_f16 v69, v3, v96, v69
	;;#ASMEND
	s_waitcnt lgkmcnt(2)
	;;#ASMSTART
	v_dot2_f32_f16 v82, v97, v4, v82
	;;#ASMEND
	;;#ASMSTART
	v_dot2_f32_f16 v82, v98, v5, v82
	;;#ASMEND
	;;#ASMSTART
	v_dot2_f32_f16 v82, v99, v6, v82
	;;#ASMEND
	;;#ASMSTART
	v_dot2_f32_f16 v82, v100, v7, v82
	;;#ASMEND
	;;#ASMSTART
	v_dot2_f32_f16 v78, v97, v85, v78
	;;#ASMEND
	;;#ASMSTART
	v_dot2_f32_f16 v78, v98, v86, v78
	;;#ASMEND
	;; [unrolled: 3-line block ×12, first 2 shown]
	s_waitcnt lgkmcnt(1)
	;;#ASMSTART
	v_dot2_f32_f16 v83, v101, v4, v83
	;;#ASMEND
	;;#ASMSTART
	v_dot2_f32_f16 v83, v102, v5, v83
	;;#ASMEND
	;; [unrolled: 3-line block ×16, first 2 shown]
	s_waitcnt lgkmcnt(0)
	;;#ASMSTART
	v_dot2_f32_f16 v84, v105, v4, v84
	;;#ASMEND
	;;#ASMSTART
	v_dot2_f32_f16 v84, v106, v5, v84
	;;#ASMEND
	;; [unrolled: 3-line block ×16, first 2 shown]
	ds_load_b128 v[0:3], v40 offset:20496
	ds_load_b128 v[4:7], v41 offset:528
	;; [unrolled: 1-line block ×8, first 2 shown]
	s_waitcnt lgkmcnt(6)
	;;#ASMSTART
	v_dot2_f32_f16 v81, v0, v4, v81
	;;#ASMEND
	;;#ASMSTART
	v_dot2_f32_f16 v81, v1, v5, v81
	;;#ASMEND
	;;#ASMSTART
	v_dot2_f32_f16 v81, v2, v6, v81
	;;#ASMEND
	;;#ASMSTART
	v_dot2_f32_f16 v81, v3, v7, v81
	;;#ASMEND
	s_waitcnt lgkmcnt(5)
	;;#ASMSTART
	v_dot2_f32_f16 v77, v0, v85, v77
	;;#ASMEND
	;;#ASMSTART
	v_dot2_f32_f16 v77, v1, v86, v77
	;;#ASMEND
	;;#ASMSTART
	v_dot2_f32_f16 v77, v2, v87, v77
	;;#ASMEND
	;;#ASMSTART
	v_dot2_f32_f16 v77, v3, v88, v77
	;;#ASMEND
	;; [unrolled: 13-line block ×5, first 2 shown]
	;;#ASMSTART
	v_dot2_f32_f16 v78, v97, v85, v78
	;;#ASMEND
	;;#ASMSTART
	v_dot2_f32_f16 v78, v98, v86, v78
	;;#ASMEND
	;; [unrolled: 3-line block ×12, first 2 shown]
	s_waitcnt lgkmcnt(1)
	;;#ASMSTART
	v_dot2_f32_f16 v83, v101, v4, v83
	;;#ASMEND
	;;#ASMSTART
	v_dot2_f32_f16 v83, v102, v5, v83
	;;#ASMEND
	;; [unrolled: 3-line block ×16, first 2 shown]
	s_waitcnt lgkmcnt(0)
	;;#ASMSTART
	v_dot2_f32_f16 v84, v105, v4, v84
	;;#ASMEND
	;;#ASMSTART
	v_dot2_f32_f16 v84, v106, v5, v84
	;;#ASMEND
	;; [unrolled: 3-line block ×16, first 2 shown]
	ds_load_b128 v[0:3], v40 offset:20512
	ds_load_b128 v[4:7], v41 offset:544
	;; [unrolled: 1-line block ×8, first 2 shown]
	s_waitcnt lgkmcnt(6)
	;;#ASMSTART
	v_dot2_f32_f16 v81, v0, v4, v81
	;;#ASMEND
	;;#ASMSTART
	v_dot2_f32_f16 v81, v1, v5, v81
	;;#ASMEND
	;;#ASMSTART
	v_dot2_f32_f16 v81, v2, v6, v81
	;;#ASMEND
	;;#ASMSTART
	v_dot2_f32_f16 v81, v3, v7, v81
	;;#ASMEND
	s_waitcnt lgkmcnt(5)
	;;#ASMSTART
	v_dot2_f32_f16 v77, v0, v85, v77
	;;#ASMEND
	;;#ASMSTART
	v_dot2_f32_f16 v77, v1, v86, v77
	;;#ASMEND
	;;#ASMSTART
	v_dot2_f32_f16 v77, v2, v87, v77
	;;#ASMEND
	;;#ASMSTART
	v_dot2_f32_f16 v77, v3, v88, v77
	;;#ASMEND
	;; [unrolled: 13-line block ×5, first 2 shown]
	;;#ASMSTART
	v_dot2_f32_f16 v78, v97, v85, v78
	;;#ASMEND
	;;#ASMSTART
	v_dot2_f32_f16 v78, v98, v86, v78
	;;#ASMEND
	;;#ASMSTART
	v_dot2_f32_f16 v78, v99, v87, v78
	;;#ASMEND
	;;#ASMSTART
	v_dot2_f32_f16 v78, v100, v88, v78
	;;#ASMEND
	;;#ASMSTART
	v_dot2_f32_f16 v74, v97, v89, v74
	;;#ASMEND
	;;#ASMSTART
	v_dot2_f32_f16 v74, v98, v90, v74
	;;#ASMEND
	;;#ASMSTART
	v_dot2_f32_f16 v74, v99, v91, v74
	;;#ASMEND
	;;#ASMSTART
	v_dot2_f32_f16 v74, v100, v92, v74
	;;#ASMEND
	;;#ASMSTART
	v_dot2_f32_f16 v70, v97, v93, v70
	;;#ASMEND
	;;#ASMSTART
	v_dot2_f32_f16 v70, v98, v94, v70
	;;#ASMEND
	;;#ASMSTART
	v_dot2_f32_f16 v70, v99, v95, v70
	;;#ASMEND
	;;#ASMSTART
	v_dot2_f32_f16 v70, v100, v96, v70
	;;#ASMEND
	s_waitcnt lgkmcnt(1)
	;;#ASMSTART
	v_dot2_f32_f16 v83, v101, v4, v83
	;;#ASMEND
	;;#ASMSTART
	v_dot2_f32_f16 v83, v102, v5, v83
	;;#ASMEND
	;; [unrolled: 3-line block ×16, first 2 shown]
	s_waitcnt lgkmcnt(0)
	;;#ASMSTART
	v_dot2_f32_f16 v84, v105, v4, v84
	;;#ASMEND
	;;#ASMSTART
	v_dot2_f32_f16 v84, v106, v5, v84
	;;#ASMEND
	;; [unrolled: 3-line block ×16, first 2 shown]
	ds_load_b128 v[0:3], v40 offset:20528
	ds_load_b128 v[4:7], v41 offset:560
	;; [unrolled: 1-line block ×8, first 2 shown]
	s_waitcnt lgkmcnt(6)
	;;#ASMSTART
	v_dot2_f32_f16 v81, v0, v4, v81
	;;#ASMEND
	;;#ASMSTART
	v_dot2_f32_f16 v81, v1, v5, v81
	;;#ASMEND
	;;#ASMSTART
	v_dot2_f32_f16 v81, v2, v6, v81
	;;#ASMEND
	;;#ASMSTART
	v_dot2_f32_f16 v81, v3, v7, v81
	;;#ASMEND
	s_waitcnt lgkmcnt(5)
	;;#ASMSTART
	v_dot2_f32_f16 v77, v0, v85, v77
	;;#ASMEND
	;;#ASMSTART
	v_dot2_f32_f16 v77, v1, v86, v77
	;;#ASMEND
	;;#ASMSTART
	v_dot2_f32_f16 v77, v2, v87, v77
	;;#ASMEND
	;;#ASMSTART
	v_dot2_f32_f16 v77, v3, v88, v77
	;;#ASMEND
	;; [unrolled: 13-line block ×5, first 2 shown]
	;;#ASMSTART
	v_dot2_f32_f16 v78, v97, v85, v78
	;;#ASMEND
	;;#ASMSTART
	v_dot2_f32_f16 v78, v98, v86, v78
	;;#ASMEND
	;; [unrolled: 3-line block ×12, first 2 shown]
	s_waitcnt lgkmcnt(1)
	;;#ASMSTART
	v_dot2_f32_f16 v83, v101, v4, v83
	;;#ASMEND
	;;#ASMSTART
	v_dot2_f32_f16 v83, v102, v5, v83
	;;#ASMEND
	;; [unrolled: 3-line block ×16, first 2 shown]
	s_waitcnt lgkmcnt(0)
	;;#ASMSTART
	v_dot2_f32_f16 v84, v105, v4, v84
	;;#ASMEND
	;;#ASMSTART
	v_dot2_f32_f16 v84, v106, v5, v84
	;;#ASMEND
	;; [unrolled: 3-line block ×16, first 2 shown]
	ds_load_b128 v[0:3], v40 offset:20544
	ds_load_b128 v[4:7], v41 offset:576
	;; [unrolled: 1-line block ×8, first 2 shown]
	s_waitcnt lgkmcnt(6)
	;;#ASMSTART
	v_dot2_f32_f16 v81, v0, v4, v81
	;;#ASMEND
	;;#ASMSTART
	v_dot2_f32_f16 v81, v1, v5, v81
	;;#ASMEND
	;;#ASMSTART
	v_dot2_f32_f16 v81, v2, v6, v81
	;;#ASMEND
	;;#ASMSTART
	v_dot2_f32_f16 v81, v3, v7, v81
	;;#ASMEND
	s_waitcnt lgkmcnt(5)
	;;#ASMSTART
	v_dot2_f32_f16 v77, v0, v85, v77
	;;#ASMEND
	;;#ASMSTART
	v_dot2_f32_f16 v77, v1, v86, v77
	;;#ASMEND
	;;#ASMSTART
	v_dot2_f32_f16 v77, v2, v87, v77
	;;#ASMEND
	;;#ASMSTART
	v_dot2_f32_f16 v77, v3, v88, v77
	;;#ASMEND
	;; [unrolled: 13-line block ×5, first 2 shown]
	;;#ASMSTART
	v_dot2_f32_f16 v78, v97, v85, v78
	;;#ASMEND
	;;#ASMSTART
	v_dot2_f32_f16 v78, v98, v86, v78
	;;#ASMEND
	;; [unrolled: 3-line block ×12, first 2 shown]
	s_waitcnt lgkmcnt(1)
	;;#ASMSTART
	v_dot2_f32_f16 v83, v101, v4, v83
	;;#ASMEND
	;;#ASMSTART
	v_dot2_f32_f16 v83, v102, v5, v83
	;;#ASMEND
	;; [unrolled: 3-line block ×16, first 2 shown]
	s_waitcnt lgkmcnt(0)
	;;#ASMSTART
	v_dot2_f32_f16 v84, v105, v4, v84
	;;#ASMEND
	;;#ASMSTART
	v_dot2_f32_f16 v84, v106, v5, v84
	;;#ASMEND
	;; [unrolled: 3-line block ×16, first 2 shown]
	ds_load_b128 v[0:3], v40 offset:20560
	ds_load_b128 v[4:7], v41 offset:592
	ds_load_b128 v[85:88], v41 offset:1232
	ds_load_b128 v[89:92], v41 offset:1872
	ds_load_b128 v[93:96], v41 offset:2512
	ds_load_b128 v[97:100], v40 offset:25168
	ds_load_b128 v[101:104], v40 offset:29776
	ds_load_b128 v[105:108], v40 offset:34384
	s_waitcnt lgkmcnt(6)
	;;#ASMSTART
	v_dot2_f32_f16 v81, v0, v4, v81
	;;#ASMEND
	;;#ASMSTART
	v_dot2_f32_f16 v81, v1, v5, v81
	;;#ASMEND
	;;#ASMSTART
	v_dot2_f32_f16 v81, v2, v6, v81
	;;#ASMEND
	;;#ASMSTART
	v_dot2_f32_f16 v81, v3, v7, v81
	;;#ASMEND
	s_waitcnt lgkmcnt(5)
	;;#ASMSTART
	v_dot2_f32_f16 v77, v0, v85, v77
	;;#ASMEND
	;;#ASMSTART
	v_dot2_f32_f16 v77, v1, v86, v77
	;;#ASMEND
	;;#ASMSTART
	v_dot2_f32_f16 v77, v2, v87, v77
	;;#ASMEND
	;;#ASMSTART
	v_dot2_f32_f16 v77, v3, v88, v77
	;;#ASMEND
	;; [unrolled: 13-line block ×5, first 2 shown]
	;;#ASMSTART
	v_dot2_f32_f16 v78, v97, v85, v78
	;;#ASMEND
	;;#ASMSTART
	v_dot2_f32_f16 v78, v98, v86, v78
	;;#ASMEND
	;; [unrolled: 3-line block ×12, first 2 shown]
	s_waitcnt lgkmcnt(1)
	;;#ASMSTART
	v_dot2_f32_f16 v83, v101, v4, v83
	;;#ASMEND
	;;#ASMSTART
	v_dot2_f32_f16 v83, v102, v5, v83
	;;#ASMEND
	;; [unrolled: 3-line block ×16, first 2 shown]
	s_waitcnt lgkmcnt(0)
	;;#ASMSTART
	v_dot2_f32_f16 v84, v105, v4, v84
	;;#ASMEND
	;;#ASMSTART
	v_dot2_f32_f16 v84, v106, v5, v84
	;;#ASMEND
	;; [unrolled: 3-line block ×16, first 2 shown]
	ds_load_b128 v[0:3], v40 offset:20576
	ds_load_b128 v[4:7], v41 offset:608
	ds_load_b128 v[85:88], v41 offset:1248
	ds_load_b128 v[89:92], v41 offset:1888
	ds_load_b128 v[93:96], v41 offset:2528
	ds_load_b128 v[97:100], v40 offset:25184
	ds_load_b128 v[101:104], v40 offset:29792
	ds_load_b128 v[105:108], v40 offset:34400
	s_waitcnt lgkmcnt(6)
	;;#ASMSTART
	v_dot2_f32_f16 v81, v0, v4, v81
	;;#ASMEND
	;;#ASMSTART
	v_dot2_f32_f16 v81, v1, v5, v81
	;;#ASMEND
	;;#ASMSTART
	v_dot2_f32_f16 v81, v2, v6, v81
	;;#ASMEND
	;;#ASMSTART
	v_dot2_f32_f16 v81, v3, v7, v81
	;;#ASMEND
	s_waitcnt lgkmcnt(5)
	;;#ASMSTART
	v_dot2_f32_f16 v77, v0, v85, v77
	;;#ASMEND
	;;#ASMSTART
	v_dot2_f32_f16 v77, v1, v86, v77
	;;#ASMEND
	;;#ASMSTART
	v_dot2_f32_f16 v77, v2, v87, v77
	;;#ASMEND
	;;#ASMSTART
	v_dot2_f32_f16 v77, v3, v88, v77
	;;#ASMEND
	;; [unrolled: 13-line block ×5, first 2 shown]
	;;#ASMSTART
	v_dot2_f32_f16 v78, v97, v85, v78
	;;#ASMEND
	;;#ASMSTART
	v_dot2_f32_f16 v78, v98, v86, v78
	;;#ASMEND
	;; [unrolled: 3-line block ×12, first 2 shown]
	s_waitcnt lgkmcnt(1)
	;;#ASMSTART
	v_dot2_f32_f16 v83, v101, v4, v83
	;;#ASMEND
	;;#ASMSTART
	v_dot2_f32_f16 v83, v102, v5, v83
	;;#ASMEND
	;; [unrolled: 3-line block ×16, first 2 shown]
	s_waitcnt lgkmcnt(0)
	;;#ASMSTART
	v_dot2_f32_f16 v84, v105, v4, v84
	;;#ASMEND
	;;#ASMSTART
	v_dot2_f32_f16 v84, v106, v5, v84
	;;#ASMEND
	;; [unrolled: 3-line block ×16, first 2 shown]
	ds_load_b128 v[0:3], v40 offset:20592
	ds_load_b128 v[4:7], v41 offset:624
	;; [unrolled: 1-line block ×8, first 2 shown]
	s_waitcnt lgkmcnt(6)
	;;#ASMSTART
	v_dot2_f32_f16 v81, v0, v4, v81
	;;#ASMEND
	;;#ASMSTART
	v_dot2_f32_f16 v81, v1, v5, v81
	;;#ASMEND
	;;#ASMSTART
	v_dot2_f32_f16 v81, v2, v6, v81
	;;#ASMEND
	;;#ASMSTART
	v_dot2_f32_f16 v81, v3, v7, v81
	;;#ASMEND
	s_waitcnt lgkmcnt(5)
	;;#ASMSTART
	v_dot2_f32_f16 v77, v0, v85, v77
	;;#ASMEND
	;;#ASMSTART
	v_dot2_f32_f16 v77, v1, v86, v77
	;;#ASMEND
	;;#ASMSTART
	v_dot2_f32_f16 v77, v2, v87, v77
	;;#ASMEND
	;;#ASMSTART
	v_dot2_f32_f16 v77, v3, v88, v77
	;;#ASMEND
	;; [unrolled: 13-line block ×5, first 2 shown]
	;;#ASMSTART
	v_dot2_f32_f16 v78, v97, v85, v78
	;;#ASMEND
	;;#ASMSTART
	v_dot2_f32_f16 v78, v98, v86, v78
	;;#ASMEND
	;; [unrolled: 3-line block ×12, first 2 shown]
	s_waitcnt lgkmcnt(1)
	;;#ASMSTART
	v_dot2_f32_f16 v83, v101, v4, v83
	;;#ASMEND
	;;#ASMSTART
	v_dot2_f32_f16 v83, v102, v5, v83
	;;#ASMEND
	;; [unrolled: 3-line block ×16, first 2 shown]
	s_waitcnt lgkmcnt(0)
	;;#ASMSTART
	v_dot2_f32_f16 v84, v105, v4, v84
	;;#ASMEND
	;;#ASMSTART
	v_dot2_f32_f16 v84, v106, v5, v84
	;;#ASMEND
	;;#ASMSTART
	v_dot2_f32_f16 v84, v107, v6, v84
	;;#ASMEND
	;;#ASMSTART
	v_dot2_f32_f16 v84, v108, v7, v84
	;;#ASMEND
	;;#ASMSTART
	v_dot2_f32_f16 v80, v105, v85, v80
	;;#ASMEND
	;;#ASMSTART
	v_dot2_f32_f16 v80, v106, v86, v80
	;;#ASMEND
	;;#ASMSTART
	v_dot2_f32_f16 v80, v107, v87, v80
	;;#ASMEND
	;;#ASMSTART
	v_dot2_f32_f16 v80, v108, v88, v80
	;;#ASMEND
	;;#ASMSTART
	v_dot2_f32_f16 v76, v105, v89, v76
	;;#ASMEND
	v_cmp_ngt_f32_e64 s18, 0x3f200000, |v81|
	;;#ASMSTART
	v_dot2_f32_f16 v76, v106, v90, v76
	;;#ASMEND
	;;#ASMSTART
	v_dot2_f32_f16 v76, v107, v91, v76
	;;#ASMEND
	;; [unrolled: 3-line block ×7, first 2 shown]
                                        ; implicit-def: $vgpr2
	s_and_saveexec_b32 s19, s18
	s_delay_alu instid0(SALU_CYCLE_1)
	s_xor_b32 s18, exec_lo, s19
	s_cbranch_execz .LBB5_19
; %bb.18:                               ;   in Loop: Header=BB5_17 Depth=1
	v_add_f32_e64 v0, |v81|, |v81|
	s_delay_alu instid0(VALU_DEP_1) | instskip(SKIP_1) | instid1(VALU_DEP_2)
	v_mul_f32_e32 v1, 0x3fb8aa3b, v0
	v_cmp_ngt_f32_e32 vcc_lo, 0xc2ce8ed0, v0
	v_rndne_f32_e32 v2, v1
	v_fma_f32 v3, 0x3fb8aa3b, v0, -v1
	s_delay_alu instid0(VALU_DEP_2) | instskip(NEXT) | instid1(VALU_DEP_2)
	v_sub_f32_e32 v1, v1, v2
	v_fmac_f32_e32 v3, 0x32a5705f, v0
	v_cvt_i32_f32_e32 v2, v2
	s_delay_alu instid0(VALU_DEP_2) | instskip(NEXT) | instid1(VALU_DEP_1)
	v_add_f32_e32 v1, v1, v3
	v_exp_f32_e32 v1, v1
	s_waitcnt_depctr 0xfff
	v_ldexp_f32 v1, v1, v2
	s_delay_alu instid0(VALU_DEP_1) | instskip(SKIP_1) | instid1(VALU_DEP_2)
	v_cndmask_b32_e32 v1, 0, v1, vcc_lo
	v_cmp_nlt_f32_e32 vcc_lo, 0x42b17218, v0
	v_cndmask_b32_e32 v0, 0x7f800000, v1, vcc_lo
	s_delay_alu instid0(VALU_DEP_1) | instskip(NEXT) | instid1(VALU_DEP_1)
	v_add_f32_e32 v0, 1.0, v0
	v_rcp_f32_e32 v0, v0
	s_waitcnt_depctr 0xfff
	v_fma_f32 v2, v0, -2.0, 1.0
.LBB5_19:                               ;   in Loop: Header=BB5_17 Depth=1
	s_and_not1_saveexec_b32 s18, s18
; %bb.20:                               ;   in Loop: Header=BB5_17 Depth=1
	v_mul_f32_e32 v0, v81, v81
	s_delay_alu instid0(VALU_DEP_1) | instskip(NEXT) | instid1(VALU_DEP_1)
	v_fmaak_f32 v1, s17, v0, 0x3ca908c9
	v_fmaak_f32 v1, v0, v1, 0xbd5c1c4e
	s_delay_alu instid0(VALU_DEP_1) | instskip(NEXT) | instid1(VALU_DEP_1)
	v_fmaak_f32 v1, v0, v1, 0x3e088382
	v_fmaak_f32 v1, v0, v1, 0xbeaaaa99
	s_delay_alu instid0(VALU_DEP_1) | instskip(NEXT) | instid1(VALU_DEP_1)
	v_mul_f32_e64 v1, |v81|, v1
	v_fma_f32 v2, v0, v1, |v81|
; %bb.21:                               ;   in Loop: Header=BB5_17 Depth=1
	s_or_b32 exec_lo, exec_lo, s18
	v_add_nc_u32_e32 v0, s4, v14
	v_cmp_ngt_f32_e64 s18, 0x3f200000, |v82|
                                        ; implicit-def: $vgpr3
	s_delay_alu instid0(VALU_DEP_2) | instskip(NEXT) | instid1(VALU_DEP_1)
	v_ashrrev_i32_e32 v1, 31, v0
	v_lshlrev_b64 v[0:1], 1, v[0:1]
	s_delay_alu instid0(VALU_DEP_1) | instskip(NEXT) | instid1(VALU_DEP_2)
	v_add_co_u32 v0, vcc_lo, s36, v0
	v_add_co_ci_u32_e32 v1, vcc_lo, s37, v1, vcc_lo
	flat_load_u16 v4, v[0:1]
	s_and_saveexec_b32 s19, s18
	s_delay_alu instid0(SALU_CYCLE_1)
	s_xor_b32 s18, exec_lo, s19
	s_cbranch_execz .LBB5_23
; %bb.22:                               ;   in Loop: Header=BB5_17 Depth=1
	v_add_f32_e64 v3, |v82|, |v82|
	s_delay_alu instid0(VALU_DEP_1) | instskip(SKIP_1) | instid1(VALU_DEP_2)
	v_mul_f32_e32 v5, 0x3fb8aa3b, v3
	v_cmp_ngt_f32_e32 vcc_lo, 0xc2ce8ed0, v3
	v_rndne_f32_e32 v6, v5
	v_fma_f32 v7, 0x3fb8aa3b, v3, -v5
	s_delay_alu instid0(VALU_DEP_2) | instskip(NEXT) | instid1(VALU_DEP_2)
	v_sub_f32_e32 v5, v5, v6
	v_fmac_f32_e32 v7, 0x32a5705f, v3
	v_cvt_i32_f32_e32 v6, v6
	s_delay_alu instid0(VALU_DEP_2) | instskip(NEXT) | instid1(VALU_DEP_1)
	v_add_f32_e32 v5, v5, v7
	v_exp_f32_e32 v5, v5
	s_waitcnt_depctr 0xfff
	v_ldexp_f32 v5, v5, v6
	s_delay_alu instid0(VALU_DEP_1) | instskip(SKIP_1) | instid1(VALU_DEP_2)
	v_cndmask_b32_e32 v5, 0, v5, vcc_lo
	v_cmp_nlt_f32_e32 vcc_lo, 0x42b17218, v3
	v_cndmask_b32_e32 v3, 0x7f800000, v5, vcc_lo
	s_delay_alu instid0(VALU_DEP_1) | instskip(NEXT) | instid1(VALU_DEP_1)
	v_add_f32_e32 v3, 1.0, v3
	v_rcp_f32_e32 v3, v3
	s_waitcnt_depctr 0xfff
	v_fma_f32 v3, v3, -2.0, 1.0
.LBB5_23:                               ;   in Loop: Header=BB5_17 Depth=1
	s_and_not1_saveexec_b32 s18, s18
; %bb.24:                               ;   in Loop: Header=BB5_17 Depth=1
	v_mul_f32_e32 v3, v82, v82
	s_delay_alu instid0(VALU_DEP_1) | instskip(NEXT) | instid1(VALU_DEP_1)
	v_fmaak_f32 v5, s17, v3, 0x3ca908c9
	v_fmaak_f32 v5, v3, v5, 0xbd5c1c4e
	s_delay_alu instid0(VALU_DEP_1) | instskip(NEXT) | instid1(VALU_DEP_1)
	v_fmaak_f32 v5, v3, v5, 0x3e088382
	v_fmaak_f32 v5, v3, v5, 0xbeaaaa99
	s_delay_alu instid0(VALU_DEP_1) | instskip(NEXT) | instid1(VALU_DEP_1)
	v_mul_f32_e64 v5, |v82|, v5
	v_fma_f32 v3, v3, v5, |v82|
; %bb.25:                               ;   in Loop: Header=BB5_17 Depth=1
	s_or_b32 exec_lo, exec_lo, s18
	flat_load_u16 v5, v[0:1] offset:64
	v_cmp_ngt_f32_e64 s18, 0x3f200000, |v83|
                                        ; implicit-def: $vgpr6
	s_delay_alu instid0(VALU_DEP_1) | instskip(NEXT) | instid1(SALU_CYCLE_1)
	s_and_saveexec_b32 s19, s18
	s_xor_b32 s18, exec_lo, s19
	s_cbranch_execz .LBB5_27
; %bb.26:                               ;   in Loop: Header=BB5_17 Depth=1
	v_add_f32_e64 v6, |v83|, |v83|
	s_delay_alu instid0(VALU_DEP_1) | instskip(SKIP_1) | instid1(VALU_DEP_2)
	v_mul_f32_e32 v7, 0x3fb8aa3b, v6
	v_cmp_ngt_f32_e32 vcc_lo, 0xc2ce8ed0, v6
	v_rndne_f32_e32 v85, v7
	v_fma_f32 v86, 0x3fb8aa3b, v6, -v7
	s_delay_alu instid0(VALU_DEP_1) | instskip(SKIP_1) | instid1(VALU_DEP_2)
	v_dual_sub_f32 v7, v7, v85 :: v_dual_fmac_f32 v86, 0x32a5705f, v6
	v_cvt_i32_f32_e32 v85, v85
	v_add_f32_e32 v7, v7, v86
	s_delay_alu instid0(VALU_DEP_1) | instskip(SKIP_2) | instid1(VALU_DEP_1)
	v_exp_f32_e32 v7, v7
	s_waitcnt_depctr 0xfff
	v_ldexp_f32 v7, v7, v85
	v_cndmask_b32_e32 v7, 0, v7, vcc_lo
	v_cmp_nlt_f32_e32 vcc_lo, 0x42b17218, v6
	s_delay_alu instid0(VALU_DEP_2) | instskip(NEXT) | instid1(VALU_DEP_1)
	v_cndmask_b32_e32 v6, 0x7f800000, v7, vcc_lo
	v_add_f32_e32 v6, 1.0, v6
	s_delay_alu instid0(VALU_DEP_1)
	v_rcp_f32_e32 v6, v6
	s_waitcnt_depctr 0xfff
	v_fma_f32 v6, v6, -2.0, 1.0
.LBB5_27:                               ;   in Loop: Header=BB5_17 Depth=1
	s_and_not1_saveexec_b32 s18, s18
; %bb.28:                               ;   in Loop: Header=BB5_17 Depth=1
	v_mul_f32_e32 v6, v83, v83
	s_delay_alu instid0(VALU_DEP_1) | instskip(NEXT) | instid1(VALU_DEP_1)
	v_fmaak_f32 v7, s17, v6, 0x3ca908c9
	v_fmaak_f32 v7, v6, v7, 0xbd5c1c4e
	s_delay_alu instid0(VALU_DEP_1) | instskip(NEXT) | instid1(VALU_DEP_1)
	v_fmaak_f32 v7, v6, v7, 0x3e088382
	v_fmaak_f32 v7, v6, v7, 0xbeaaaa99
	s_delay_alu instid0(VALU_DEP_1) | instskip(NEXT) | instid1(VALU_DEP_1)
	v_mul_f32_e64 v7, |v83|, v7
	v_fma_f32 v6, v6, v7, |v83|
; %bb.29:                               ;   in Loop: Header=BB5_17 Depth=1
	s_or_b32 exec_lo, exec_lo, s18
	flat_load_u16 v92, v[0:1] offset:128
	v_cmp_ngt_f32_e64 s18, 0x3f200000, |v84|
                                        ; implicit-def: $vgpr7
	s_delay_alu instid0(VALU_DEP_1) | instskip(NEXT) | instid1(SALU_CYCLE_1)
	s_and_saveexec_b32 s19, s18
	s_xor_b32 s18, exec_lo, s19
	s_cbranch_execz .LBB5_31
; %bb.30:                               ;   in Loop: Header=BB5_17 Depth=1
	v_add_f32_e64 v7, |v84|, |v84|
	s_delay_alu instid0(VALU_DEP_1) | instskip(SKIP_1) | instid1(VALU_DEP_2)
	v_mul_f32_e32 v85, 0x3fb8aa3b, v7
	v_cmp_ngt_f32_e32 vcc_lo, 0xc2ce8ed0, v7
	v_rndne_f32_e32 v86, v85
	v_fma_f32 v87, 0x3fb8aa3b, v7, -v85
	s_delay_alu instid0(VALU_DEP_2) | instskip(NEXT) | instid1(VALU_DEP_2)
	v_sub_f32_e32 v85, v85, v86
	v_fmac_f32_e32 v87, 0x32a5705f, v7
	v_cvt_i32_f32_e32 v86, v86
	s_delay_alu instid0(VALU_DEP_2) | instskip(NEXT) | instid1(VALU_DEP_1)
	v_add_f32_e32 v85, v85, v87
	v_exp_f32_e32 v85, v85
	s_waitcnt_depctr 0xfff
	v_ldexp_f32 v85, v85, v86
	s_delay_alu instid0(VALU_DEP_1) | instskip(SKIP_1) | instid1(VALU_DEP_2)
	v_cndmask_b32_e32 v85, 0, v85, vcc_lo
	v_cmp_nlt_f32_e32 vcc_lo, 0x42b17218, v7
	v_cndmask_b32_e32 v7, 0x7f800000, v85, vcc_lo
	s_delay_alu instid0(VALU_DEP_1) | instskip(NEXT) | instid1(VALU_DEP_1)
	v_add_f32_e32 v7, 1.0, v7
	v_rcp_f32_e32 v7, v7
	s_waitcnt_depctr 0xfff
	v_fma_f32 v7, v7, -2.0, 1.0
.LBB5_31:                               ;   in Loop: Header=BB5_17 Depth=1
	s_and_not1_saveexec_b32 s18, s18
; %bb.32:                               ;   in Loop: Header=BB5_17 Depth=1
	v_mul_f32_e32 v7, v84, v84
	s_delay_alu instid0(VALU_DEP_1) | instskip(NEXT) | instid1(VALU_DEP_1)
	v_fmaak_f32 v85, s17, v7, 0x3ca908c9
	v_fmaak_f32 v85, v7, v85, 0xbd5c1c4e
	s_delay_alu instid0(VALU_DEP_1) | instskip(NEXT) | instid1(VALU_DEP_1)
	v_fmaak_f32 v85, v7, v85, 0x3e088382
	v_fmaak_f32 v85, v7, v85, 0xbeaaaa99
	s_delay_alu instid0(VALU_DEP_1) | instskip(NEXT) | instid1(VALU_DEP_1)
	v_mul_f32_e64 v85, |v84|, v85
	v_fma_f32 v7, v7, v85, |v84|
; %bb.33:                               ;   in Loop: Header=BB5_17 Depth=1
	s_or_b32 exec_lo, exec_lo, s18
	flat_load_u16 v93, v[0:1] offset:192
	v_bfi_b32 v0, 0x7fffffff, v2, v81
	v_bfi_b32 v1, 0x7fffffff, v3, v82
	;; [unrolled: 1-line block ×3, first 2 shown]
	v_xor_b32_e32 v85, 16, v33
	v_xor_b32_e32 v84, 8, v33
	s_waitcnt vmcnt(3) lgkmcnt(3)
	v_fma_mix_f32 v86, v0, s16, v4 op_sel_hi:[0,0,1]
	s_waitcnt vmcnt(2) lgkmcnt(2)
	v_fma_mix_f32 v87, v1, s16, v5 op_sel_hi:[0,0,1]
	v_bfi_b32 v0, 0x7fffffff, v6, v83
	v_cmp_gt_i32_e32 vcc_lo, 32, v85
	v_xor_b32_e32 v83, 4, v33
	v_xor_b32_e32 v82, 2, v33
	v_add_f32_e32 v3, 0x40051340, v87
	s_waitcnt vmcnt(1) lgkmcnt(1)
	v_fma_mix_f32 v88, v0, s16, v92 op_sel_hi:[0,0,1]
	v_dual_cndmask_b32 v0, v33, v85 :: v_dual_add_f32 v1, 0x40051340, v86
	v_cmp_gt_i32_e32 vcc_lo, 32, v84
	v_xor_b32_e32 v81, 1, v33
	v_cmp_ngt_f32_e64 s18, 0x3f200000, |v77|
	s_delay_alu instid0(VALU_DEP_4) | instskip(SKIP_4) | instid1(VALU_DEP_3)
	v_lshlrev_b32_e32 v0, 2, v0
	s_waitcnt vmcnt(0) lgkmcnt(0)
	v_fma_mix_f32 v89, v2, s16, v93 op_sel_hi:[0,0,1]
	v_add_f32_e32 v2, 0x40051340, v88
	v_max3_f32 v1, v68, v1, v3
	v_add_f32_e32 v3, 0x40051340, v89
	s_delay_alu instid0(VALU_DEP_1)
	v_max3_f32 v1, v1, v2, v3
	ds_bpermute_b32 v2, v0, v1
	v_cndmask_b32_e32 v3, v33, v84, vcc_lo
	v_cmp_gt_i32_e32 vcc_lo, 32, v83
	s_waitcnt lgkmcnt(0)
	v_max_f32_e32 v2, v2, v2
	s_delay_alu instid0(VALU_DEP_1) | instskip(SKIP_4) | instid1(VALU_DEP_2)
	v_dual_max_f32 v1, v1, v2 :: v_dual_lshlrev_b32 v90, 2, v3
	ds_bpermute_b32 v2, v90, v1
	v_cndmask_b32_e32 v3, v33, v83, vcc_lo
	v_cmp_gt_i32_e32 vcc_lo, 32, v82
	s_waitcnt lgkmcnt(0)
	v_dual_max_f32 v2, v2, v2 :: v_dual_lshlrev_b32 v7, 2, v3
	v_cndmask_b32_e32 v3, v33, v82, vcc_lo
	v_cmp_gt_i32_e32 vcc_lo, 32, v81
	s_delay_alu instid0(VALU_DEP_3) | instskip(NEXT) | instid1(VALU_DEP_3)
	v_max_f32_e32 v1, v1, v2
	v_dual_cndmask_b32 v6, v33, v81 :: v_dual_lshlrev_b32 v3, 2, v3
	ds_bpermute_b32 v2, v7, v1
	s_waitcnt lgkmcnt(0)
	v_max_f32_e32 v2, v2, v2
	s_delay_alu instid0(VALU_DEP_1) | instskip(SKIP_4) | instid1(VALU_DEP_2)
	v_max_f32_e32 v1, v1, v2
	ds_bpermute_b32 v2, v3, v1
	s_waitcnt lgkmcnt(0)
	v_max_f32_e32 v91, v2, v2
	v_lshlrev_b32_e32 v2, 2, v6
                                        ; implicit-def: $vgpr6
	v_max_f32_e32 v1, v1, v91
	ds_bpermute_b32 v94, v2, v1
	s_and_saveexec_b32 s19, s18
	s_delay_alu instid0(SALU_CYCLE_1)
	s_xor_b32 s18, exec_lo, s19
	s_cbranch_execz .LBB5_35
; %bb.34:                               ;   in Loop: Header=BB5_17 Depth=1
	v_add_f32_e64 v6, |v77|, |v77|
	s_delay_alu instid0(VALU_DEP_1) | instskip(SKIP_1) | instid1(VALU_DEP_2)
	v_mul_f32_e32 v91, 0x3fb8aa3b, v6
	v_cmp_ngt_f32_e32 vcc_lo, 0xc2ce8ed0, v6
	v_rndne_f32_e32 v95, v91
	v_fma_f32 v96, 0x3fb8aa3b, v6, -v91
	s_delay_alu instid0(VALU_DEP_1) | instskip(SKIP_1) | instid1(VALU_DEP_2)
	v_dual_sub_f32 v91, v91, v95 :: v_dual_fmac_f32 v96, 0x32a5705f, v6
	v_cvt_i32_f32_e32 v95, v95
	v_add_f32_e32 v91, v91, v96
	s_delay_alu instid0(VALU_DEP_1) | instskip(SKIP_2) | instid1(VALU_DEP_1)
	v_exp_f32_e32 v91, v91
	s_waitcnt_depctr 0xfff
	v_ldexp_f32 v91, v91, v95
	v_cndmask_b32_e32 v91, 0, v91, vcc_lo
	v_cmp_nlt_f32_e32 vcc_lo, 0x42b17218, v6
	s_delay_alu instid0(VALU_DEP_2) | instskip(NEXT) | instid1(VALU_DEP_1)
	v_cndmask_b32_e32 v6, 0x7f800000, v91, vcc_lo
	v_add_f32_e32 v6, 1.0, v6
	s_delay_alu instid0(VALU_DEP_1)
	v_rcp_f32_e32 v6, v6
	s_waitcnt_depctr 0xfff
	v_fma_f32 v6, v6, -2.0, 1.0
.LBB5_35:                               ;   in Loop: Header=BB5_17 Depth=1
	s_and_not1_saveexec_b32 s18, s18
; %bb.36:                               ;   in Loop: Header=BB5_17 Depth=1
	v_mul_f32_e32 v6, v77, v77
	s_delay_alu instid0(VALU_DEP_1) | instskip(NEXT) | instid1(VALU_DEP_1)
	v_fmaak_f32 v91, s17, v6, 0x3ca908c9
	v_fmaak_f32 v91, v6, v91, 0xbd5c1c4e
	s_delay_alu instid0(VALU_DEP_1) | instskip(NEXT) | instid1(VALU_DEP_1)
	v_fmaak_f32 v91, v6, v91, 0x3e088382
	v_fmaak_f32 v91, v6, v91, 0xbeaaaa99
	s_delay_alu instid0(VALU_DEP_1) | instskip(NEXT) | instid1(VALU_DEP_1)
	v_mul_f32_e64 v91, |v77|, v91
	v_fma_f32 v6, v6, v91, |v77|
; %bb.37:                               ;   in Loop: Header=BB5_17 Depth=1
	s_or_b32 exec_lo, exec_lo, s18
	v_cmp_ngt_f32_e64 s18, 0x3f200000, |v78|
                                        ; implicit-def: $vgpr95
	s_delay_alu instid0(VALU_DEP_1) | instskip(NEXT) | instid1(SALU_CYCLE_1)
	s_and_saveexec_b32 s19, s18
	s_xor_b32 s18, exec_lo, s19
	s_cbranch_execz .LBB5_39
; %bb.38:                               ;   in Loop: Header=BB5_17 Depth=1
	v_add_f32_e64 v91, |v78|, |v78|
	s_delay_alu instid0(VALU_DEP_1) | instskip(SKIP_1) | instid1(VALU_DEP_2)
	v_mul_f32_e32 v95, 0x3fb8aa3b, v91
	v_cmp_ngt_f32_e32 vcc_lo, 0xc2ce8ed0, v91
	v_rndne_f32_e32 v96, v95
	v_fma_f32 v97, 0x3fb8aa3b, v91, -v95
	s_delay_alu instid0(VALU_DEP_2) | instskip(NEXT) | instid1(VALU_DEP_2)
	v_sub_f32_e32 v95, v95, v96
	v_fmac_f32_e32 v97, 0x32a5705f, v91
	v_cvt_i32_f32_e32 v96, v96
	s_delay_alu instid0(VALU_DEP_2) | instskip(NEXT) | instid1(VALU_DEP_1)
	v_add_f32_e32 v95, v95, v97
	v_exp_f32_e32 v95, v95
	s_waitcnt_depctr 0xfff
	v_ldexp_f32 v95, v95, v96
	s_delay_alu instid0(VALU_DEP_1) | instskip(SKIP_1) | instid1(VALU_DEP_2)
	v_cndmask_b32_e32 v95, 0, v95, vcc_lo
	v_cmp_nlt_f32_e32 vcc_lo, 0x42b17218, v91
	v_cndmask_b32_e32 v91, 0x7f800000, v95, vcc_lo
	s_delay_alu instid0(VALU_DEP_1) | instskip(NEXT) | instid1(VALU_DEP_1)
	v_add_f32_e32 v91, 1.0, v91
	v_rcp_f32_e32 v91, v91
	s_waitcnt_depctr 0xfff
	v_fma_f32 v95, v91, -2.0, 1.0
.LBB5_39:                               ;   in Loop: Header=BB5_17 Depth=1
	s_and_not1_saveexec_b32 s18, s18
; %bb.40:                               ;   in Loop: Header=BB5_17 Depth=1
	v_mul_f32_e32 v91, v78, v78
	s_delay_alu instid0(VALU_DEP_1) | instskip(NEXT) | instid1(VALU_DEP_1)
	v_fmaak_f32 v95, s17, v91, 0x3ca908c9
	v_fmaak_f32 v95, v91, v95, 0xbd5c1c4e
	s_delay_alu instid0(VALU_DEP_1) | instskip(NEXT) | instid1(VALU_DEP_1)
	v_fmaak_f32 v95, v91, v95, 0x3e088382
	v_fmaak_f32 v95, v91, v95, 0xbeaaaa99
	s_delay_alu instid0(VALU_DEP_1) | instskip(NEXT) | instid1(VALU_DEP_1)
	v_mul_f32_e64 v95, |v78|, v95
	v_fma_f32 v95, v91, v95, |v78|
; %bb.41:                               ;   in Loop: Header=BB5_17 Depth=1
	s_or_b32 exec_lo, exec_lo, s18
	v_cmp_ngt_f32_e64 s18, 0x3f200000, |v79|
                                        ; implicit-def: $vgpr96
	s_delay_alu instid0(VALU_DEP_1) | instskip(NEXT) | instid1(SALU_CYCLE_1)
	s_and_saveexec_b32 s19, s18
	s_xor_b32 s18, exec_lo, s19
	s_cbranch_execz .LBB5_43
; %bb.42:                               ;   in Loop: Header=BB5_17 Depth=1
	v_add_f32_e64 v91, |v79|, |v79|
	s_delay_alu instid0(VALU_DEP_1) | instskip(SKIP_1) | instid1(VALU_DEP_2)
	v_mul_f32_e32 v96, 0x3fb8aa3b, v91
	v_cmp_ngt_f32_e32 vcc_lo, 0xc2ce8ed0, v91
	v_rndne_f32_e32 v97, v96
	v_fma_f32 v98, 0x3fb8aa3b, v91, -v96
	s_delay_alu instid0(VALU_DEP_2) | instskip(NEXT) | instid1(VALU_DEP_2)
	v_sub_f32_e32 v96, v96, v97
	v_fmac_f32_e32 v98, 0x32a5705f, v91
	v_cvt_i32_f32_e32 v97, v97
	s_delay_alu instid0(VALU_DEP_2) | instskip(NEXT) | instid1(VALU_DEP_1)
	v_add_f32_e32 v96, v96, v98
	v_exp_f32_e32 v96, v96
	s_waitcnt_depctr 0xfff
	v_ldexp_f32 v96, v96, v97
	s_delay_alu instid0(VALU_DEP_1) | instskip(SKIP_1) | instid1(VALU_DEP_2)
	v_cndmask_b32_e32 v96, 0, v96, vcc_lo
	v_cmp_nlt_f32_e32 vcc_lo, 0x42b17218, v91
	v_cndmask_b32_e32 v91, 0x7f800000, v96, vcc_lo
	s_delay_alu instid0(VALU_DEP_1) | instskip(NEXT) | instid1(VALU_DEP_1)
	v_add_f32_e32 v91, 1.0, v91
	v_rcp_f32_e32 v91, v91
	s_waitcnt_depctr 0xfff
	v_fma_f32 v96, v91, -2.0, 1.0
.LBB5_43:                               ;   in Loop: Header=BB5_17 Depth=1
	s_and_not1_saveexec_b32 s18, s18
; %bb.44:                               ;   in Loop: Header=BB5_17 Depth=1
	v_mul_f32_e32 v91, v79, v79
	s_delay_alu instid0(VALU_DEP_1) | instskip(NEXT) | instid1(VALU_DEP_1)
	v_fmaak_f32 v96, s17, v91, 0x3ca908c9
	v_fmaak_f32 v96, v91, v96, 0xbd5c1c4e
	s_delay_alu instid0(VALU_DEP_1) | instskip(NEXT) | instid1(VALU_DEP_1)
	v_fmaak_f32 v96, v91, v96, 0x3e088382
	v_fmaak_f32 v96, v91, v96, 0xbeaaaa99
	s_delay_alu instid0(VALU_DEP_1) | instskip(NEXT) | instid1(VALU_DEP_1)
	v_mul_f32_e64 v96, |v79|, v96
	v_fma_f32 v96, v91, v96, |v79|
; %bb.45:                               ;   in Loop: Header=BB5_17 Depth=1
	s_or_b32 exec_lo, exec_lo, s18
	v_cmp_ngt_f32_e64 s18, 0x3f200000, |v80|
                                        ; implicit-def: $vgpr97
	s_delay_alu instid0(VALU_DEP_1) | instskip(NEXT) | instid1(SALU_CYCLE_1)
	s_and_saveexec_b32 s19, s18
	s_xor_b32 s18, exec_lo, s19
	s_cbranch_execz .LBB5_47
; %bb.46:                               ;   in Loop: Header=BB5_17 Depth=1
	v_add_f32_e64 v91, |v80|, |v80|
	s_delay_alu instid0(VALU_DEP_1) | instskip(SKIP_1) | instid1(VALU_DEP_2)
	v_mul_f32_e32 v97, 0x3fb8aa3b, v91
	v_cmp_ngt_f32_e32 vcc_lo, 0xc2ce8ed0, v91
	v_rndne_f32_e32 v98, v97
	v_fma_f32 v99, 0x3fb8aa3b, v91, -v97
	s_delay_alu instid0(VALU_DEP_2) | instskip(NEXT) | instid1(VALU_DEP_2)
	v_sub_f32_e32 v97, v97, v98
	v_fmac_f32_e32 v99, 0x32a5705f, v91
	v_cvt_i32_f32_e32 v98, v98
	s_delay_alu instid0(VALU_DEP_2) | instskip(NEXT) | instid1(VALU_DEP_1)
	v_add_f32_e32 v97, v97, v99
	v_exp_f32_e32 v97, v97
	s_waitcnt_depctr 0xfff
	v_ldexp_f32 v97, v97, v98
	s_delay_alu instid0(VALU_DEP_1) | instskip(SKIP_1) | instid1(VALU_DEP_2)
	v_cndmask_b32_e32 v97, 0, v97, vcc_lo
	v_cmp_nlt_f32_e32 vcc_lo, 0x42b17218, v91
	v_cndmask_b32_e32 v91, 0x7f800000, v97, vcc_lo
	s_delay_alu instid0(VALU_DEP_1) | instskip(NEXT) | instid1(VALU_DEP_1)
	v_add_f32_e32 v91, 1.0, v91
	v_rcp_f32_e32 v91, v91
	s_waitcnt_depctr 0xfff
	v_fma_f32 v97, v91, -2.0, 1.0
.LBB5_47:                               ;   in Loop: Header=BB5_17 Depth=1
	s_and_not1_saveexec_b32 s18, s18
; %bb.48:                               ;   in Loop: Header=BB5_17 Depth=1
	v_mul_f32_e32 v91, v80, v80
	s_delay_alu instid0(VALU_DEP_1) | instskip(NEXT) | instid1(VALU_DEP_1)
	v_fmaak_f32 v97, s17, v91, 0x3ca908c9
	v_fmaak_f32 v97, v91, v97, 0xbd5c1c4e
	s_delay_alu instid0(VALU_DEP_1) | instskip(NEXT) | instid1(VALU_DEP_1)
	v_fmaak_f32 v97, v91, v97, 0x3e088382
	v_fmaak_f32 v97, v91, v97, 0xbeaaaa99
	s_delay_alu instid0(VALU_DEP_1) | instskip(NEXT) | instid1(VALU_DEP_1)
	v_mul_f32_e64 v97, |v80|, v97
	v_fma_f32 v97, v91, v97, |v80|
; %bb.49:                               ;   in Loop: Header=BB5_17 Depth=1
	s_or_b32 exec_lo, exec_lo, s18
	v_cvt_f32_f16_e32 v91, v4
	v_bfi_b32 v77, 0x7fffffff, v6, v77
	v_cvt_f32_f16_e32 v6, v5
	v_bfi_b32 v78, 0x7fffffff, v95, v78
	v_cvt_f32_f16_e32 v4, v92
	v_cvt_f32_f16_e32 v5, v93
	v_fma_f32 v92, s16, v77, v91
	v_bfi_b32 v77, 0x7fffffff, v96, v79
	v_fma_f32 v79, s16, v78, v6
	v_bfi_b32 v80, 0x7fffffff, v97, v80
	v_cmp_ngt_f32_e64 s18, 0x3f200000, |v73|
	s_delay_alu instid0(VALU_DEP_4) | instskip(SKIP_3) | instid1(VALU_DEP_4)
	v_fma_f32 v78, s16, v77, v4
	v_add_f32_e32 v93, 0x40051340, v92
	v_add_f32_e32 v95, 0x40051340, v79
	v_fma_f32 v77, s16, v80, v5
	v_add_f32_e32 v80, 0x40051340, v78
	s_delay_alu instid0(VALU_DEP_3) | instskip(NEXT) | instid1(VALU_DEP_3)
	v_max3_f32 v93, v66, v93, v95
	v_add_f32_e32 v95, 0x40051340, v77
	s_delay_alu instid0(VALU_DEP_1) | instskip(SKIP_3) | instid1(VALU_DEP_1)
	v_max3_f32 v80, v93, v80, v95
	ds_bpermute_b32 v93, v0, v80
	s_waitcnt lgkmcnt(0)
	v_max_f32_e32 v93, v93, v93
	v_max_f32_e32 v80, v80, v93
	ds_bpermute_b32 v93, v90, v80
	s_waitcnt lgkmcnt(0)
	v_max_f32_e32 v93, v93, v93
	s_delay_alu instid0(VALU_DEP_1) | instskip(SKIP_3) | instid1(VALU_DEP_1)
	v_max_f32_e32 v80, v80, v93
	ds_bpermute_b32 v93, v7, v80
	s_waitcnt lgkmcnt(0)
	v_max_f32_e32 v93, v93, v93
	v_max_f32_e32 v80, v80, v93
	ds_bpermute_b32 v93, v3, v80
	s_waitcnt lgkmcnt(0)
	v_max_f32_e32 v93, v93, v93
	s_delay_alu instid0(VALU_DEP_1) | instskip(SKIP_2) | instid1(SALU_CYCLE_1)
	v_max_f32_e32 v95, v80, v93
                                        ; implicit-def: $vgpr80
	ds_bpermute_b32 v96, v2, v95
	s_and_saveexec_b32 s19, s18
	s_xor_b32 s18, exec_lo, s19
	s_cbranch_execz .LBB5_51
; %bb.50:                               ;   in Loop: Header=BB5_17 Depth=1
	v_add_f32_e64 v80, |v73|, |v73|
	s_delay_alu instid0(VALU_DEP_1) | instskip(SKIP_1) | instid1(VALU_DEP_2)
	v_mul_f32_e32 v93, 0x3fb8aa3b, v80
	v_cmp_ngt_f32_e32 vcc_lo, 0xc2ce8ed0, v80
	v_rndne_f32_e32 v97, v93
	v_fma_f32 v98, 0x3fb8aa3b, v80, -v93
	s_delay_alu instid0(VALU_DEP_1) | instskip(SKIP_1) | instid1(VALU_DEP_2)
	v_dual_sub_f32 v93, v93, v97 :: v_dual_fmac_f32 v98, 0x32a5705f, v80
	v_cvt_i32_f32_e32 v97, v97
	v_add_f32_e32 v93, v93, v98
	s_delay_alu instid0(VALU_DEP_1) | instskip(SKIP_2) | instid1(VALU_DEP_1)
	v_exp_f32_e32 v93, v93
	s_waitcnt_depctr 0xfff
	v_ldexp_f32 v93, v93, v97
	v_cndmask_b32_e32 v93, 0, v93, vcc_lo
	v_cmp_nlt_f32_e32 vcc_lo, 0x42b17218, v80
	s_delay_alu instid0(VALU_DEP_2) | instskip(NEXT) | instid1(VALU_DEP_1)
	v_cndmask_b32_e32 v80, 0x7f800000, v93, vcc_lo
	v_add_f32_e32 v80, 1.0, v80
	s_delay_alu instid0(VALU_DEP_1)
	v_rcp_f32_e32 v80, v80
	s_waitcnt_depctr 0xfff
	v_fma_f32 v80, v80, -2.0, 1.0
.LBB5_51:                               ;   in Loop: Header=BB5_17 Depth=1
	s_and_not1_saveexec_b32 s18, s18
; %bb.52:                               ;   in Loop: Header=BB5_17 Depth=1
	v_mul_f32_e32 v80, v73, v73
	s_delay_alu instid0(VALU_DEP_1) | instskip(NEXT) | instid1(VALU_DEP_1)
	v_fmaak_f32 v93, s17, v80, 0x3ca908c9
	v_fmaak_f32 v93, v80, v93, 0xbd5c1c4e
	s_delay_alu instid0(VALU_DEP_1) | instskip(NEXT) | instid1(VALU_DEP_1)
	v_fmaak_f32 v93, v80, v93, 0x3e088382
	v_fmaak_f32 v93, v80, v93, 0xbeaaaa99
	s_delay_alu instid0(VALU_DEP_1) | instskip(NEXT) | instid1(VALU_DEP_1)
	v_mul_f32_e64 v93, |v73|, v93
	v_fma_f32 v80, v80, v93, |v73|
; %bb.53:                               ;   in Loop: Header=BB5_17 Depth=1
	s_or_b32 exec_lo, exec_lo, s18
	v_cmp_ngt_f32_e64 s18, 0x3f200000, |v74|
                                        ; implicit-def: $vgpr93
	s_delay_alu instid0(VALU_DEP_1) | instskip(NEXT) | instid1(SALU_CYCLE_1)
	s_and_saveexec_b32 s19, s18
	s_xor_b32 s18, exec_lo, s19
	s_cbranch_execz .LBB5_55
; %bb.54:                               ;   in Loop: Header=BB5_17 Depth=1
	v_add_f32_e64 v93, |v74|, |v74|
	s_delay_alu instid0(VALU_DEP_1) | instskip(SKIP_1) | instid1(VALU_DEP_2)
	v_mul_f32_e32 v97, 0x3fb8aa3b, v93
	v_cmp_ngt_f32_e32 vcc_lo, 0xc2ce8ed0, v93
	v_rndne_f32_e32 v98, v97
	v_fma_f32 v99, 0x3fb8aa3b, v93, -v97
	s_delay_alu instid0(VALU_DEP_2) | instskip(NEXT) | instid1(VALU_DEP_2)
	v_sub_f32_e32 v97, v97, v98
	v_fmac_f32_e32 v99, 0x32a5705f, v93
	v_cvt_i32_f32_e32 v98, v98
	s_delay_alu instid0(VALU_DEP_2) | instskip(NEXT) | instid1(VALU_DEP_1)
	v_add_f32_e32 v97, v97, v99
	v_exp_f32_e32 v97, v97
	s_waitcnt_depctr 0xfff
	v_ldexp_f32 v97, v97, v98
	s_delay_alu instid0(VALU_DEP_1) | instskip(SKIP_1) | instid1(VALU_DEP_2)
	v_cndmask_b32_e32 v97, 0, v97, vcc_lo
	v_cmp_nlt_f32_e32 vcc_lo, 0x42b17218, v93
	v_cndmask_b32_e32 v93, 0x7f800000, v97, vcc_lo
	s_delay_alu instid0(VALU_DEP_1) | instskip(NEXT) | instid1(VALU_DEP_1)
	v_add_f32_e32 v93, 1.0, v93
	v_rcp_f32_e32 v93, v93
	s_waitcnt_depctr 0xfff
	v_fma_f32 v93, v93, -2.0, 1.0
.LBB5_55:                               ;   in Loop: Header=BB5_17 Depth=1
	s_and_not1_saveexec_b32 s18, s18
; %bb.56:                               ;   in Loop: Header=BB5_17 Depth=1
	v_mul_f32_e32 v93, v74, v74
	s_delay_alu instid0(VALU_DEP_1) | instskip(NEXT) | instid1(VALU_DEP_1)
	v_fmaak_f32 v97, s17, v93, 0x3ca908c9
	v_fmaak_f32 v97, v93, v97, 0xbd5c1c4e
	s_delay_alu instid0(VALU_DEP_1) | instskip(NEXT) | instid1(VALU_DEP_1)
	v_fmaak_f32 v97, v93, v97, 0x3e088382
	v_fmaak_f32 v97, v93, v97, 0xbeaaaa99
	s_delay_alu instid0(VALU_DEP_1) | instskip(NEXT) | instid1(VALU_DEP_1)
	v_mul_f32_e64 v97, |v74|, v97
	v_fma_f32 v93, v93, v97, |v74|
; %bb.57:                               ;   in Loop: Header=BB5_17 Depth=1
	s_or_b32 exec_lo, exec_lo, s18
	v_cmp_ngt_f32_e64 s18, 0x3f200000, |v75|
                                        ; implicit-def: $vgpr97
	s_delay_alu instid0(VALU_DEP_1) | instskip(NEXT) | instid1(SALU_CYCLE_1)
	s_and_saveexec_b32 s19, s18
	s_xor_b32 s18, exec_lo, s19
	s_cbranch_execz .LBB5_59
; %bb.58:                               ;   in Loop: Header=BB5_17 Depth=1
	v_add_f32_e64 v97, |v75|, |v75|
	s_delay_alu instid0(VALU_DEP_1) | instskip(SKIP_1) | instid1(VALU_DEP_2)
	v_mul_f32_e32 v98, 0x3fb8aa3b, v97
	v_cmp_ngt_f32_e32 vcc_lo, 0xc2ce8ed0, v97
	v_rndne_f32_e32 v99, v98
	v_fma_f32 v100, 0x3fb8aa3b, v97, -v98
	s_delay_alu instid0(VALU_DEP_2) | instskip(NEXT) | instid1(VALU_DEP_2)
	v_sub_f32_e32 v98, v98, v99
	v_fmac_f32_e32 v100, 0x32a5705f, v97
	v_cvt_i32_f32_e32 v99, v99
	s_delay_alu instid0(VALU_DEP_2) | instskip(NEXT) | instid1(VALU_DEP_1)
	v_add_f32_e32 v98, v98, v100
	v_exp_f32_e32 v98, v98
	s_waitcnt_depctr 0xfff
	v_ldexp_f32 v98, v98, v99
	s_delay_alu instid0(VALU_DEP_1) | instskip(SKIP_1) | instid1(VALU_DEP_2)
	v_cndmask_b32_e32 v98, 0, v98, vcc_lo
	v_cmp_nlt_f32_e32 vcc_lo, 0x42b17218, v97
	v_cndmask_b32_e32 v97, 0x7f800000, v98, vcc_lo
	s_delay_alu instid0(VALU_DEP_1) | instskip(NEXT) | instid1(VALU_DEP_1)
	v_add_f32_e32 v97, 1.0, v97
	v_rcp_f32_e32 v97, v97
	s_waitcnt_depctr 0xfff
	v_fma_f32 v97, v97, -2.0, 1.0
.LBB5_59:                               ;   in Loop: Header=BB5_17 Depth=1
	s_and_not1_saveexec_b32 s18, s18
; %bb.60:                               ;   in Loop: Header=BB5_17 Depth=1
	v_mul_f32_e32 v97, v75, v75
	s_delay_alu instid0(VALU_DEP_1) | instskip(NEXT) | instid1(VALU_DEP_1)
	v_fmaak_f32 v98, s17, v97, 0x3ca908c9
	v_fmaak_f32 v98, v97, v98, 0xbd5c1c4e
	s_delay_alu instid0(VALU_DEP_1) | instskip(NEXT) | instid1(VALU_DEP_1)
	v_fmaak_f32 v98, v97, v98, 0x3e088382
	v_fmaak_f32 v98, v97, v98, 0xbeaaaa99
	s_delay_alu instid0(VALU_DEP_1) | instskip(NEXT) | instid1(VALU_DEP_1)
	v_mul_f32_e64 v98, |v75|, v98
	v_fma_f32 v97, v97, v98, |v75|
; %bb.61:                               ;   in Loop: Header=BB5_17 Depth=1
	s_or_b32 exec_lo, exec_lo, s18
	v_cmp_ngt_f32_e64 s18, 0x3f200000, |v76|
                                        ; implicit-def: $vgpr98
	s_delay_alu instid0(VALU_DEP_1) | instskip(NEXT) | instid1(SALU_CYCLE_1)
	s_and_saveexec_b32 s19, s18
	s_xor_b32 s18, exec_lo, s19
	s_cbranch_execz .LBB5_63
; %bb.62:                               ;   in Loop: Header=BB5_17 Depth=1
	v_add_f32_e64 v98, |v76|, |v76|
	s_delay_alu instid0(VALU_DEP_1) | instskip(SKIP_1) | instid1(VALU_DEP_2)
	v_mul_f32_e32 v99, 0x3fb8aa3b, v98
	v_cmp_ngt_f32_e32 vcc_lo, 0xc2ce8ed0, v98
	v_rndne_f32_e32 v100, v99
	v_fma_f32 v101, 0x3fb8aa3b, v98, -v99
	s_delay_alu instid0(VALU_DEP_2) | instskip(NEXT) | instid1(VALU_DEP_2)
	v_sub_f32_e32 v99, v99, v100
	v_fmac_f32_e32 v101, 0x32a5705f, v98
	v_cvt_i32_f32_e32 v100, v100
	s_delay_alu instid0(VALU_DEP_2) | instskip(NEXT) | instid1(VALU_DEP_1)
	v_add_f32_e32 v99, v99, v101
	v_exp_f32_e32 v99, v99
	s_waitcnt_depctr 0xfff
	v_ldexp_f32 v99, v99, v100
	s_delay_alu instid0(VALU_DEP_1) | instskip(SKIP_1) | instid1(VALU_DEP_2)
	v_cndmask_b32_e32 v99, 0, v99, vcc_lo
	v_cmp_nlt_f32_e32 vcc_lo, 0x42b17218, v98
	v_cndmask_b32_e32 v98, 0x7f800000, v99, vcc_lo
	s_delay_alu instid0(VALU_DEP_1) | instskip(NEXT) | instid1(VALU_DEP_1)
	v_add_f32_e32 v98, 1.0, v98
	v_rcp_f32_e32 v98, v98
	s_waitcnt_depctr 0xfff
	v_fma_f32 v98, v98, -2.0, 1.0
.LBB5_63:                               ;   in Loop: Header=BB5_17 Depth=1
	s_and_not1_saveexec_b32 s18, s18
; %bb.64:                               ;   in Loop: Header=BB5_17 Depth=1
	v_mul_f32_e32 v98, v76, v76
	s_delay_alu instid0(VALU_DEP_1) | instskip(NEXT) | instid1(VALU_DEP_1)
	v_fmaak_f32 v99, s17, v98, 0x3ca908c9
	v_fmaak_f32 v99, v98, v99, 0xbd5c1c4e
	s_delay_alu instid0(VALU_DEP_1) | instskip(NEXT) | instid1(VALU_DEP_1)
	v_fmaak_f32 v99, v98, v99, 0x3e088382
	v_fmaak_f32 v99, v98, v99, 0xbeaaaa99
	s_delay_alu instid0(VALU_DEP_1) | instskip(NEXT) | instid1(VALU_DEP_1)
	v_mul_f32_e64 v99, |v76|, v99
	v_fma_f32 v98, v98, v99, |v76|
; %bb.65:                               ;   in Loop: Header=BB5_17 Depth=1
	s_or_b32 exec_lo, exec_lo, s18
	v_bfi_b32 v73, 0x7fffffff, v80, v73
	v_bfi_b32 v74, 0x7fffffff, v93, v74
	;; [unrolled: 1-line block ×3, first 2 shown]
	v_cmp_ngt_f32_e64 s18, 0x3f200000, |v69|
	s_delay_alu instid0(VALU_DEP_4) | instskip(NEXT) | instid1(VALU_DEP_4)
	v_fma_f32 v75, s16, v73, v91
	v_fma_f32 v80, s16, v74, v6
	v_bfi_b32 v74, 0x7fffffff, v98, v76
	v_fma_f32 v73, s16, v93, v4
	s_delay_alu instid0(VALU_DEP_3) | instskip(NEXT) | instid1(VALU_DEP_3)
	v_dual_add_f32 v76, 0x40051340, v75 :: v_dual_add_f32 v93, 0x40051340, v80
	v_fma_f32 v74, s16, v74, v5
	s_delay_alu instid0(VALU_DEP_3) | instskip(NEXT) | instid1(VALU_DEP_3)
	v_add_f32_e32 v97, 0x40051340, v73
	v_max3_f32 v76, v11, v76, v93
	s_delay_alu instid0(VALU_DEP_3) | instskip(NEXT) | instid1(VALU_DEP_1)
	v_add_f32_e32 v93, 0x40051340, v74
	v_max3_f32 v76, v76, v97, v93
                                        ; implicit-def: $vgpr97
	ds_bpermute_b32 v93, v0, v76
	s_waitcnt lgkmcnt(0)
	v_max_f32_e32 v93, v93, v93
	s_delay_alu instid0(VALU_DEP_1) | instskip(SKIP_3) | instid1(VALU_DEP_1)
	v_max_f32_e32 v76, v76, v93
	ds_bpermute_b32 v93, v90, v76
	s_waitcnt lgkmcnt(0)
	v_max_f32_e32 v93, v93, v93
	v_max_f32_e32 v76, v76, v93
	ds_bpermute_b32 v93, v7, v76
	s_waitcnt lgkmcnt(0)
	v_max_f32_e32 v93, v93, v93
	s_delay_alu instid0(VALU_DEP_1) | instskip(SKIP_3) | instid1(VALU_DEP_1)
	v_max_f32_e32 v76, v76, v93
	ds_bpermute_b32 v93, v3, v76
	s_waitcnt lgkmcnt(0)
	v_max_f32_e32 v93, v93, v93
	v_max_f32_e32 v76, v76, v93
	ds_bpermute_b32 v93, v2, v76
	s_and_saveexec_b32 s19, s18
	s_delay_alu instid0(SALU_CYCLE_1)
	s_xor_b32 s18, exec_lo, s19
	s_cbranch_execz .LBB5_67
; %bb.66:                               ;   in Loop: Header=BB5_17 Depth=1
	v_add_f32_e64 v97, |v69|, |v69|
	s_delay_alu instid0(VALU_DEP_1) | instskip(SKIP_1) | instid1(VALU_DEP_2)
	v_mul_f32_e32 v98, 0x3fb8aa3b, v97
	v_cmp_ngt_f32_e32 vcc_lo, 0xc2ce8ed0, v97
	v_rndne_f32_e32 v99, v98
	v_fma_f32 v100, 0x3fb8aa3b, v97, -v98
	s_delay_alu instid0(VALU_DEP_2) | instskip(NEXT) | instid1(VALU_DEP_2)
	v_sub_f32_e32 v98, v98, v99
	v_fmac_f32_e32 v100, 0x32a5705f, v97
	v_cvt_i32_f32_e32 v99, v99
	s_delay_alu instid0(VALU_DEP_2) | instskip(NEXT) | instid1(VALU_DEP_1)
	v_add_f32_e32 v98, v98, v100
	v_exp_f32_e32 v98, v98
	s_waitcnt_depctr 0xfff
	v_ldexp_f32 v98, v98, v99
	s_delay_alu instid0(VALU_DEP_1) | instskip(SKIP_1) | instid1(VALU_DEP_2)
	v_cndmask_b32_e32 v98, 0, v98, vcc_lo
	v_cmp_nlt_f32_e32 vcc_lo, 0x42b17218, v97
	v_cndmask_b32_e32 v97, 0x7f800000, v98, vcc_lo
	s_delay_alu instid0(VALU_DEP_1) | instskip(NEXT) | instid1(VALU_DEP_1)
	v_add_f32_e32 v97, 1.0, v97
	v_rcp_f32_e32 v97, v97
	s_waitcnt_depctr 0xfff
	v_fma_f32 v97, v97, -2.0, 1.0
.LBB5_67:                               ;   in Loop: Header=BB5_17 Depth=1
	s_and_not1_saveexec_b32 s18, s18
; %bb.68:                               ;   in Loop: Header=BB5_17 Depth=1
	v_mul_f32_e32 v97, v69, v69
	s_delay_alu instid0(VALU_DEP_1) | instskip(NEXT) | instid1(VALU_DEP_1)
	v_fmaak_f32 v98, s17, v97, 0x3ca908c9
	v_fmaak_f32 v98, v97, v98, 0xbd5c1c4e
	s_delay_alu instid0(VALU_DEP_1) | instskip(NEXT) | instid1(VALU_DEP_1)
	v_fmaak_f32 v98, v97, v98, 0x3e088382
	v_fmaak_f32 v98, v97, v98, 0xbeaaaa99
	s_delay_alu instid0(VALU_DEP_1) | instskip(NEXT) | instid1(VALU_DEP_1)
	v_mul_f32_e64 v98, |v69|, v98
	v_fma_f32 v97, v97, v98, |v69|
; %bb.69:                               ;   in Loop: Header=BB5_17 Depth=1
	s_or_b32 exec_lo, exec_lo, s18
	v_cmp_ngt_f32_e64 s18, 0x3f200000, |v70|
                                        ; implicit-def: $vgpr98
	s_delay_alu instid0(VALU_DEP_1) | instskip(NEXT) | instid1(SALU_CYCLE_1)
	s_and_saveexec_b32 s19, s18
	s_xor_b32 s18, exec_lo, s19
	s_cbranch_execz .LBB5_71
; %bb.70:                               ;   in Loop: Header=BB5_17 Depth=1
	v_add_f32_e64 v98, |v70|, |v70|
	s_delay_alu instid0(VALU_DEP_1) | instskip(SKIP_1) | instid1(VALU_DEP_2)
	v_mul_f32_e32 v99, 0x3fb8aa3b, v98
	v_cmp_ngt_f32_e32 vcc_lo, 0xc2ce8ed0, v98
	v_rndne_f32_e32 v100, v99
	v_fma_f32 v101, 0x3fb8aa3b, v98, -v99
	s_delay_alu instid0(VALU_DEP_2) | instskip(NEXT) | instid1(VALU_DEP_2)
	v_sub_f32_e32 v99, v99, v100
	v_fmac_f32_e32 v101, 0x32a5705f, v98
	v_cvt_i32_f32_e32 v100, v100
	s_delay_alu instid0(VALU_DEP_2) | instskip(NEXT) | instid1(VALU_DEP_1)
	v_add_f32_e32 v99, v99, v101
	v_exp_f32_e32 v99, v99
	s_waitcnt_depctr 0xfff
	v_ldexp_f32 v99, v99, v100
	s_delay_alu instid0(VALU_DEP_1) | instskip(SKIP_1) | instid1(VALU_DEP_2)
	v_cndmask_b32_e32 v99, 0, v99, vcc_lo
	v_cmp_nlt_f32_e32 vcc_lo, 0x42b17218, v98
	v_cndmask_b32_e32 v98, 0x7f800000, v99, vcc_lo
	s_delay_alu instid0(VALU_DEP_1) | instskip(NEXT) | instid1(VALU_DEP_1)
	v_add_f32_e32 v98, 1.0, v98
	v_rcp_f32_e32 v98, v98
	s_waitcnt_depctr 0xfff
	v_fma_f32 v98, v98, -2.0, 1.0
.LBB5_71:                               ;   in Loop: Header=BB5_17 Depth=1
	s_and_not1_saveexec_b32 s18, s18
; %bb.72:                               ;   in Loop: Header=BB5_17 Depth=1
	v_mul_f32_e32 v98, v70, v70
	s_delay_alu instid0(VALU_DEP_1) | instskip(NEXT) | instid1(VALU_DEP_1)
	v_fmaak_f32 v99, s17, v98, 0x3ca908c9
	v_fmaak_f32 v99, v98, v99, 0xbd5c1c4e
	s_delay_alu instid0(VALU_DEP_1) | instskip(NEXT) | instid1(VALU_DEP_1)
	v_fmaak_f32 v99, v98, v99, 0x3e088382
	v_fmaak_f32 v99, v98, v99, 0xbeaaaa99
	s_delay_alu instid0(VALU_DEP_1) | instskip(NEXT) | instid1(VALU_DEP_1)
	v_mul_f32_e64 v99, |v70|, v99
	v_fma_f32 v98, v98, v99, |v70|
; %bb.73:                               ;   in Loop: Header=BB5_17 Depth=1
	s_or_b32 exec_lo, exec_lo, s18
	v_cmp_ngt_f32_e64 s18, 0x3f200000, |v71|
                                        ; implicit-def: $vgpr99
	s_delay_alu instid0(VALU_DEP_1) | instskip(NEXT) | instid1(SALU_CYCLE_1)
	s_and_saveexec_b32 s19, s18
	s_xor_b32 s18, exec_lo, s19
	s_cbranch_execz .LBB5_75
; %bb.74:                               ;   in Loop: Header=BB5_17 Depth=1
	v_add_f32_e64 v99, |v71|, |v71|
	s_delay_alu instid0(VALU_DEP_1) | instskip(SKIP_1) | instid1(VALU_DEP_2)
	v_mul_f32_e32 v100, 0x3fb8aa3b, v99
	v_cmp_ngt_f32_e32 vcc_lo, 0xc2ce8ed0, v99
	v_rndne_f32_e32 v101, v100
	v_fma_f32 v102, 0x3fb8aa3b, v99, -v100
	s_delay_alu instid0(VALU_DEP_2) | instskip(NEXT) | instid1(VALU_DEP_2)
	v_sub_f32_e32 v100, v100, v101
	v_fmac_f32_e32 v102, 0x32a5705f, v99
	v_cvt_i32_f32_e32 v101, v101
	s_delay_alu instid0(VALU_DEP_2) | instskip(NEXT) | instid1(VALU_DEP_1)
	v_add_f32_e32 v100, v100, v102
	v_exp_f32_e32 v100, v100
	s_waitcnt_depctr 0xfff
	v_ldexp_f32 v100, v100, v101
	s_delay_alu instid0(VALU_DEP_1) | instskip(SKIP_1) | instid1(VALU_DEP_2)
	v_cndmask_b32_e32 v100, 0, v100, vcc_lo
	v_cmp_nlt_f32_e32 vcc_lo, 0x42b17218, v99
	v_cndmask_b32_e32 v99, 0x7f800000, v100, vcc_lo
	s_delay_alu instid0(VALU_DEP_1) | instskip(NEXT) | instid1(VALU_DEP_1)
	v_add_f32_e32 v99, 1.0, v99
	v_rcp_f32_e32 v99, v99
	s_waitcnt_depctr 0xfff
	v_fma_f32 v99, v99, -2.0, 1.0
.LBB5_75:                               ;   in Loop: Header=BB5_17 Depth=1
	s_and_not1_saveexec_b32 s18, s18
; %bb.76:                               ;   in Loop: Header=BB5_17 Depth=1
	v_mul_f32_e32 v99, v71, v71
	s_delay_alu instid0(VALU_DEP_1) | instskip(NEXT) | instid1(VALU_DEP_1)
	v_fmaak_f32 v100, s17, v99, 0x3ca908c9
	v_fmaak_f32 v100, v99, v100, 0xbd5c1c4e
	s_delay_alu instid0(VALU_DEP_1) | instskip(NEXT) | instid1(VALU_DEP_1)
	v_fmaak_f32 v100, v99, v100, 0x3e088382
	v_fmaak_f32 v100, v99, v100, 0xbeaaaa99
	s_delay_alu instid0(VALU_DEP_1) | instskip(NEXT) | instid1(VALU_DEP_1)
	v_mul_f32_e64 v100, |v71|, v100
	v_fma_f32 v99, v99, v100, |v71|
; %bb.77:                               ;   in Loop: Header=BB5_17 Depth=1
	s_or_b32 exec_lo, exec_lo, s18
	v_cmp_ngt_f32_e64 s18, 0x3f200000, |v72|
                                        ; implicit-def: $vgpr100
	s_delay_alu instid0(VALU_DEP_1) | instskip(NEXT) | instid1(SALU_CYCLE_1)
	s_and_saveexec_b32 s19, s18
	s_xor_b32 s18, exec_lo, s19
	s_cbranch_execz .LBB5_79
; %bb.78:                               ;   in Loop: Header=BB5_17 Depth=1
	v_add_f32_e64 v100, |v72|, |v72|
	s_delay_alu instid0(VALU_DEP_1) | instskip(SKIP_1) | instid1(VALU_DEP_2)
	v_mul_f32_e32 v101, 0x3fb8aa3b, v100
	v_cmp_ngt_f32_e32 vcc_lo, 0xc2ce8ed0, v100
	v_rndne_f32_e32 v102, v101
	v_fma_f32 v103, 0x3fb8aa3b, v100, -v101
	s_delay_alu instid0(VALU_DEP_2) | instskip(NEXT) | instid1(VALU_DEP_2)
	v_sub_f32_e32 v101, v101, v102
	v_fmac_f32_e32 v103, 0x32a5705f, v100
	v_cvt_i32_f32_e32 v102, v102
	s_delay_alu instid0(VALU_DEP_2) | instskip(NEXT) | instid1(VALU_DEP_1)
	v_add_f32_e32 v101, v101, v103
	v_exp_f32_e32 v101, v101
	s_waitcnt_depctr 0xfff
	v_ldexp_f32 v101, v101, v102
	s_delay_alu instid0(VALU_DEP_1) | instskip(SKIP_1) | instid1(VALU_DEP_2)
	v_cndmask_b32_e32 v101, 0, v101, vcc_lo
	v_cmp_nlt_f32_e32 vcc_lo, 0x42b17218, v100
	v_cndmask_b32_e32 v100, 0x7f800000, v101, vcc_lo
	s_delay_alu instid0(VALU_DEP_1) | instskip(NEXT) | instid1(VALU_DEP_1)
	v_add_f32_e32 v100, 1.0, v100
	v_rcp_f32_e32 v100, v100
	s_waitcnt_depctr 0xfff
	v_fma_f32 v100, v100, -2.0, 1.0
.LBB5_79:                               ;   in Loop: Header=BB5_17 Depth=1
	s_and_not1_saveexec_b32 s18, s18
; %bb.80:                               ;   in Loop: Header=BB5_17 Depth=1
	v_mul_f32_e32 v100, v72, v72
	s_delay_alu instid0(VALU_DEP_1) | instskip(NEXT) | instid1(VALU_DEP_1)
	v_fmaak_f32 v101, s17, v100, 0x3ca908c9
	v_fmaak_f32 v101, v100, v101, 0xbd5c1c4e
	s_delay_alu instid0(VALU_DEP_1) | instskip(NEXT) | instid1(VALU_DEP_1)
	v_fmaak_f32 v101, v100, v101, 0x3e088382
	v_fmaak_f32 v101, v100, v101, 0xbeaaaa99
	s_delay_alu instid0(VALU_DEP_1) | instskip(NEXT) | instid1(VALU_DEP_1)
	v_mul_f32_e64 v101, |v72|, v101
	v_fma_f32 v100, v100, v101, |v72|
; %bb.81:                               ;   in Loop: Header=BB5_17 Depth=1
	s_or_b32 exec_lo, exec_lo, s18
	v_bfi_b32 v69, 0x7fffffff, v97, v69
	v_bfi_b32 v70, 0x7fffffff, v98, v70
	;; [unrolled: 1-line block ×4, first 2 shown]
	s_mul_hi_i32 s19, s4, s5
	s_delay_alu instid0(VALU_DEP_3) | instskip(NEXT) | instid1(VALU_DEP_2)
	v_dual_fmac_f32 v91, s16, v69 :: v_dual_fmac_f32 v6, s16, v70
	v_dual_fmac_f32 v4, s16, v71 :: v_dual_fmac_f32 v5, s16, v72
	s_mul_i32 s18, s4, s5
	s_delay_alu instid0(VALU_DEP_2) | instskip(NEXT) | instid1(VALU_DEP_2)
	v_dual_add_f32 v69, 0x40051340, v91 :: v_dual_add_f32 v70, 0x40051340, v6
	v_dual_add_f32 v71, 0x40051340, v4 :: v_dual_add_f32 v72, 0x40051340, v5
	s_lshl_b64 s[18:19], s[18:19], 2
	s_waitcnt lgkmcnt(0)
	s_delay_alu instid0(VALU_DEP_2)
	v_max3_f32 v69, v10, v69, v70
	v_max_f32_e32 v70, v96, v96
	s_add_u32 s18, s11, s18
	s_addc_u32 s19, s13, s19
	s_barrier
	v_max3_f32 v69, v69, v71, v72
	v_dual_max_f32 v71, v95, v95 :: v_dual_max_f32 v72, v94, v94
	buffer_gl0_inv
	v_max_f32_e32 v76, v76, v76
	ds_bpermute_b32 v94, v0, v69
	v_dual_max_f32 v0, v1, v1 :: v_dual_max_f32 v1, v71, v70
	v_add_co_u32 v70, vcc_lo, s18, v23
	v_add_co_ci_u32_e32 v71, vcc_lo, s19, v24, vcc_lo
	s_delay_alu instid0(VALU_DEP_3) | instskip(SKIP_2) | instid1(VALU_DEP_3)
	v_max_f32_e32 v0, v0, v72
	v_add_co_u32 v72, vcc_lo, s18, v25
	v_add_co_ci_u32_e32 v95, vcc_lo, s19, v26, vcc_lo
	v_sub_f32_e32 v110, v89, v0
	v_add_co_u32 v96, vcc_lo, s18, v27
	v_add_co_ci_u32_e32 v97, vcc_lo, s19, v28, vcc_lo
	s_delay_alu instid0(VALU_DEP_3) | instskip(SKIP_4) | instid1(VALU_DEP_3)
	v_dual_mul_f32 v113, 0x3fb8aa3b, v110 :: v_dual_sub_f32 v108, v86, v0
	s_waitcnt lgkmcnt(0)
	v_dual_sub_f32 v109, v88, v0 :: v_dual_max_f32 v94, v94, v94
	v_add_co_u32 v100, vcc_lo, s18, v29
	v_add_co_ci_u32_e32 v101, vcc_lo, s19, v30, vcc_lo
	v_dual_max_f32 v104, v69, v94 :: v_dual_mul_f32 v111, 0x3fb8aa3b, v108
	v_sub_f32_e32 v107, v87, v0
	v_sub_f32_e32 v106, v68, v0
	v_add_co_u32 v68, vcc_lo, v70, v39
	ds_bpermute_b32 v86, v90, v104
	v_add_co_ci_u32_e32 v69, vcc_lo, 0, v71, vcc_lo
	v_add_co_u32 v70, vcc_lo, v72, v39
	v_add_co_ci_u32_e32 v71, vcc_lo, 0, v95, vcc_lo
	v_add_co_u32 v98, vcc_lo, v96, v39
	;; [unrolled: 2-line block ×3, first 2 shown]
	v_rndne_f32_e32 v121, v113
	v_mul_f32_e32 v72, 0x3fb8aa3b, v107
	v_fma_f32 v116, 0x3fb8aa3b, v108, -v111
	v_rndne_f32_e32 v117, v111
	v_add_co_ci_u32_e32 v103, vcc_lo, 0, v101, vcc_lo
	v_cmp_ngt_f32_e32 vcc_lo, 0xc2ce8ed0, v107
	s_waitcnt lgkmcnt(0)
	v_max_f32_e32 v100, v86, v86
	s_clause 0x1
	global_load_b128 v[86:89], v[68:69], off
	global_load_b128 v[94:97], v[70:71], off
	v_dual_sub_f32 v111, v111, v117 :: v_dual_fmac_f32 v116, 0x32a5705f, v108
	v_sub_f32_e32 v78, v78, v1
	v_max_f32_e32 v68, v104, v100
	s_clause 0x1
	global_load_b128 v[98:101], v[98:99], off
	global_load_b128 v[102:105], v[102:103], off
	s_or_b32 s18, s4, 32
	v_sub_f32_e32 v79, v79, v1
	s_mul_hi_i32 s19, s18, s5
	ds_bpermute_b32 v7, v7, v68
	v_sub_f32_e32 v92, v92, v1
	s_mul_i32 s18, s18, s5
	s_delay_alu instid0(SALU_CYCLE_1) | instskip(NEXT) | instid1(SALU_CYCLE_1)
	s_lshl_b64 s[18:19], s[18:19], 2
	s_add_u32 s18, s11, s18
	s_addc_u32 s19, s13, s19
	s_waitcnt lgkmcnt(0)
	v_max_f32_e32 v7, v7, v7
	s_delay_alu instid0(VALU_DEP_1)
	v_max_f32_e32 v7, v68, v7
	v_fma_f32 v120, 0x3fb8aa3b, v110, -v113
	v_sub_f32_e32 v113, v113, v121
	v_fma_f32 v69, 0x3fb8aa3b, v107, -v72
	v_rndne_f32_e32 v70, v72
	ds_bpermute_b32 v3, v3, v7
	v_mul_f32_e32 v90, 0x3fb8aa3b, v92
	v_dual_fmac_f32 v120, 0x32a5705f, v110 :: v_dual_fmac_f32 v69, 0x32a5705f, v107
	v_sub_f32_e32 v72, v72, v70
	v_mul_f32_e32 v114, 0x3fb8aa3b, v106
	v_cvt_i32_f32_e32 v70, v70
	s_delay_alu instid0(VALU_DEP_3) | instskip(NEXT) | instid1(VALU_DEP_1)
	v_add_f32_e32 v68, v72, v69
	v_exp_f32_e32 v68, v68
	s_waitcnt lgkmcnt(0)
	v_max_f32_e32 v3, v3, v3
	v_fma_f32 v71, 0x3fb8aa3b, v92, -v90
	v_rndne_f32_e32 v115, v90
	s_waitcnt_depctr 0xfff
	v_ldexp_f32 v68, v68, v70
	v_max_f32_e32 v3, v7, v3
	v_dual_fmac_f32 v71, 0x32a5705f, v92 :: v_dual_sub_f32 v90, v90, v115
	v_mul_f32_e32 v112, 0x3fb8aa3b, v109
	s_delay_alu instid0(VALU_DEP_4)
	v_cndmask_b32_e32 v68, 0, v68, vcc_lo
	v_cmp_ngt_f32_e32 vcc_lo, 0xc2ce8ed0, v108
	v_cvt_i32_f32_e32 v115, v115
	v_add_f32_e32 v69, v90, v71
	v_fma_f32 v118, 0x3fb8aa3b, v109, -v112
	v_rndne_f32_e32 v119, v112
	v_add_f32_e32 v71, v111, v116
	v_add_f32_e32 v111, v113, v120
	v_exp_f32_e32 v69, v69
	v_fmac_f32_e32 v118, 0x32a5705f, v109
	v_sub_f32_e32 v112, v112, v119
	v_exp_f32_e32 v71, v71
	v_cvt_i32_f32_e32 v113, v119
	v_fma_f32 v122, 0x3fb8aa3b, v106, -v114
	v_rndne_f32_e32 v123, v114
	v_add_f32_e32 v72, v112, v118
	v_cvt_i32_f32_e32 v112, v117
	v_exp_f32_e32 v111, v111
	v_ldexp_f32 v69, v69, v115
	v_sub_f32_e32 v90, v114, v123
	v_exp_f32_e32 v72, v72
	v_ldexp_f32 v70, v71, v112
	v_cvt_i32_f32_e32 v114, v121
	s_delay_alu instid0(VALU_DEP_2)
	v_cndmask_b32_e32 v70, 0, v70, vcc_lo
	v_cmp_nlt_f32_e32 vcc_lo, 0x42b17218, v107
	s_waitcnt_depctr 0xfff
	v_ldexp_f32 v71, v72, v113
	ds_bpermute_b32 v72, v2, v3
	v_cndmask_b32_e32 v68, 0x7f800000, v68, vcc_lo
	v_cmp_nlt_f32_e32 vcc_lo, 0x42b17218, v108
	v_cndmask_b32_e32 v70, 0x7f800000, v70, vcc_lo
	v_cmp_ngt_f32_e32 vcc_lo, 0xc2ce8ed0, v109
	v_cndmask_b32_e32 v7, 0, v71, vcc_lo
	v_cmp_ngt_f32_e32 vcc_lo, 0xc2ce8ed0, v92
	s_delay_alu instid0(VALU_DEP_4)
	v_add_f32_e32 v71, v70, v68
	v_cndmask_b32_e32 v69, 0, v69, vcc_lo
	v_cmp_nlt_f32_e32 vcc_lo, 0x42b17218, v109
	s_waitcnt lgkmcnt(0)
	v_max_f32_e32 v72, v72, v72
	v_cndmask_b32_e32 v2, 0x7f800000, v7, vcc_lo
	v_fmac_f32_e32 v122, 0x32a5705f, v106
	v_cmp_nlt_f32_e32 vcc_lo, 0x42b17218, v92
	v_ldexp_f32 v7, v111, v114
	v_max_f32_e32 v3, v3, v72
	v_cvt_f16_f32_e32 v107, v2
	v_dual_cndmask_b32 v92, 0x7f800000, v69 :: v_dual_add_f32 v69, v2, v71
	v_add_f32_e32 v90, v90, v122
	v_cmp_ngt_f32_e32 vcc_lo, 0xc2ce8ed0, v110
	v_cvt_i32_f32_e32 v71, v123
	v_sub_f32_e32 v6, v6, v3
	v_sub_f32_e32 v4, v4, v3
	v_exp_f32_e32 v90, v90
	v_cndmask_b32_e32 v7, 0, v7, vcc_lo
	v_cmp_nlt_f32_e32 vcc_lo, 0x42b17218, v110
	v_sub_f32_e32 v114, v10, v3
	v_sub_f32_e32 v5, v5, v3
	s_delay_alu instid0(VALU_DEP_4) | instskip(SKIP_1) | instid1(TRANS32_DEP_1)
	v_cndmask_b32_e32 v7, 0x7f800000, v7, vcc_lo
	v_cmp_ngt_f32_e32 vcc_lo, 0xc2ce8ed0, v106
	v_ldexp_f32 v71, v90, v71
	s_delay_alu instid0(VALU_DEP_3) | instskip(SKIP_1) | instid1(VALU_DEP_3)
	v_dual_mul_f32 v90, 0x3fb8aa3b, v79 :: v_dual_add_f32 v69, v7, v69
	v_cvt_f16_f32_e32 v109, v7
	v_cndmask_b32_e32 v2, 0, v71, vcc_lo
	s_delay_alu instid0(VALU_DEP_3) | instskip(SKIP_2) | instid1(VALU_DEP_2)
	v_fma_f32 v71, 0x3fb8aa3b, v79, -v90
	v_rndne_f32_e32 v108, v90
	v_cmp_nlt_f32_e32 vcc_lo, 0x42b17218, v106
	v_dual_fmac_f32 v71, 0x32a5705f, v79 :: v_dual_sub_f32 v90, v90, v108
	v_cndmask_b32_e32 v2, 0x7f800000, v2, vcc_lo
	v_cmp_ngt_f32_e32 vcc_lo, 0xc2ce8ed0, v79
	s_delay_alu instid0(VALU_DEP_2) | instskip(NEXT) | instid1(VALU_DEP_4)
	v_cvt_f16_f32_e32 v110, v2
	v_dual_fmac_f32 v69, v67, v2 :: v_dual_add_f32 v2, v90, v71
	s_delay_alu instid0(VALU_DEP_2) | instskip(SKIP_1) | instid1(VALU_DEP_3)
	v_pk_mul_f16 v90, v110, v64 op_sel_hi:[0,1]
	v_sub_f32_e32 v64, v77, v1
	v_exp_f32_e32 v2, v2
	v_pk_mul_f16 v77, v110, v63 op_sel_hi:[0,1]
	v_sub_f32_e32 v63, v66, v1
	v_cvt_i32_f32_e32 v66, v108
	v_pk_mul_f16 v111, v110, v62 op_sel_hi:[0,1]
	s_delay_alu instid0(VALU_DEP_3) | instskip(SKIP_4) | instid1(VALU_DEP_3)
	v_mul_f32_e32 v108, 0x3fb8aa3b, v63
	s_waitcnt_depctr 0xfff
	v_ldexp_f32 v2, v2, v66
	v_fma_f32 v112, 0x3fb8aa3b, v63, -v108
	v_rndne_f32_e32 v113, v108
	v_cndmask_b32_e32 v2, 0, v2, vcc_lo
	v_cmp_nlt_f32_e32 vcc_lo, 0x42b17218, v79
	s_delay_alu instid0(VALU_DEP_4) | instskip(NEXT) | instid1(VALU_DEP_3)
	v_fmac_f32_e32 v112, 0x32a5705f, v63
	v_cndmask_b32_e32 v79, 0x7f800000, v2, vcc_lo
	v_mul_f32_e32 v106, 0x3fb8aa3b, v78
	v_cmp_ngt_f32_e32 vcc_lo, 0xc2ce8ed0, v78
	s_delay_alu instid0(VALU_DEP_2) | instskip(SKIP_1) | instid1(VALU_DEP_1)
	v_fma_f32 v7, 0x3fb8aa3b, v78, -v106
	v_rndne_f32_e32 v67, v106
	v_dual_fmac_f32 v7, 0x32a5705f, v78 :: v_dual_sub_f32 v62, v106, v67
	v_cvt_i32_f32_e32 v67, v67
	s_delay_alu instid0(VALU_DEP_2) | instskip(SKIP_1) | instid1(VALU_DEP_2)
	v_dual_add_f32 v7, v62, v7 :: v_dual_mul_f32 v62, 0x3fb8aa3b, v64
	v_cvt_f16_f32_e32 v68, v68
	v_exp_f32_e32 v7, v7
	s_delay_alu instid0(VALU_DEP_2)
	v_fma_f32 v66, 0x3fb8aa3b, v64, -v62
	s_waitcnt_depctr 0xfff
	v_ldexp_f32 v2, v7, v67
	v_max_f32_e32 v67, v93, v93
	v_cvt_f16_f32_e32 v106, v70
	v_rndne_f32_e32 v70, v62
	s_delay_alu instid0(VALU_DEP_4) | instskip(SKIP_1) | instid1(VALU_DEP_3)
	v_cndmask_b32_e32 v2, 0, v2, vcc_lo
	v_cmp_nlt_f32_e32 vcc_lo, 0x42b17218, v78
	v_sub_f32_e32 v62, v62, v70
	v_cvt_i32_f32_e32 v70, v70
	s_delay_alu instid0(VALU_DEP_4) | instskip(SKIP_4) | instid1(VALU_DEP_4)
	v_cndmask_b32_e32 v78, 0x7f800000, v2, vcc_lo
	v_max_f32_e32 v2, v76, v67
	v_fmac_f32_e32 v66, 0x32a5705f, v64
	v_cmp_ngt_f32_e32 vcc_lo, 0xc2ce8ed0, v64
	v_cvt_f16_f32_e32 v67, v79
	v_sub_f32_e32 v76, v80, v2
	s_delay_alu instid0(VALU_DEP_4) | instskip(SKIP_1) | instid1(VALU_DEP_2)
	v_dual_add_f32 v7, v62, v66 :: v_dual_sub_f32 v62, v108, v113
	v_add_f32_e32 v66, v92, v79
	v_exp_f32_e32 v7, v7
	s_delay_alu instid0(VALU_DEP_2) | instskip(NEXT) | instid1(VALU_DEP_2)
	v_add_f32_e32 v62, v62, v112
	v_add_f32_e32 v66, v78, v66
	s_delay_alu instid0(VALU_DEP_2) | instskip(SKIP_3) | instid1(VALU_DEP_2)
	v_exp_f32_e32 v62, v62
	s_waitcnt_depctr 0xfff
	v_ldexp_f32 v7, v7, v70
	v_cvt_i32_f32_e32 v70, v113
	v_cndmask_b32_e32 v7, 0, v7, vcc_lo
	v_cmp_nlt_f32_e32 vcc_lo, 0x42b17218, v64
	s_delay_alu instid0(VALU_DEP_3) | instskip(SKIP_1) | instid1(VALU_DEP_4)
	v_ldexp_f32 v62, v62, v70
	v_mul_f32_e32 v70, 0x3fb8aa3b, v76
	v_cndmask_b32_e32 v7, 0x7f800000, v7, vcc_lo
	v_cmp_ngt_f32_e32 vcc_lo, 0xc2ce8ed0, v63
	s_delay_alu instid0(VALU_DEP_3) | instskip(SKIP_3) | instid1(VALU_DEP_3)
	v_fma_f32 v64, 0x3fb8aa3b, v76, -v70
	v_rndne_f32_e32 v79, v70
	v_cndmask_b32_e32 v62, 0, v62, vcc_lo
	v_cmp_nlt_f32_e32 vcc_lo, 0x42b17218, v63
	v_dual_fmac_f32 v64, 0x32a5705f, v76 :: v_dual_sub_f32 v63, v70, v79
	v_add_f32_e32 v70, v7, v66
	v_cvt_f16_f32_e32 v66, v7
	v_cndmask_b32_e32 v62, 0x7f800000, v62, vcc_lo
	v_cvt_f16_f32_e32 v71, v92
	v_add_f32_e32 v7, v63, v64
	v_sub_f32_e32 v63, v91, v3
	v_cmp_ngt_f32_e32 vcc_lo, 0xc2ce8ed0, v76
	v_cvt_f16_f32_e32 v80, v62
	v_fmac_f32_e32 v70, v65, v62
	v_sub_f32_e32 v62, v75, v2
	v_exp_f32_e32 v7, v7
	v_cvt_i32_f32_e32 v65, v79
	v_pk_mul_f16 v91, v80, v61 op_sel_hi:[0,1]
	v_mul_f32_e32 v61, 0x3fb8aa3b, v63
	v_pk_mul_f16 v92, v80, v60 op_sel_hi:[0,1]
	v_mul_f32_e32 v60, 0x3fb8aa3b, v62
	v_pk_mul_f16 v58, v80, v58 op_sel_hi:[0,1]
	s_delay_alu instid0(VALU_DEP_4) | instskip(SKIP_1) | instid1(VALU_DEP_4)
	v_fma_f32 v72, 0x3fb8aa3b, v63, -v61
	v_rndne_f32_e32 v75, v61
	v_fma_f32 v79, 0x3fb8aa3b, v62, -v60
	v_rndne_f32_e32 v93, v60
	v_ldexp_f32 v7, v7, v65
	v_fmac_f32_e32 v72, 0x32a5705f, v63
	v_sub_f32_e32 v61, v61, v75
	s_delay_alu instid0(VALU_DEP_4) | instskip(SKIP_2) | instid1(VALU_DEP_4)
	v_dual_fmac_f32 v79, 0x32a5705f, v62 :: v_dual_sub_f32 v60, v60, v93
	v_sub_f32_e32 v65, v11, v2
	v_cndmask_b32_e32 v7, 0, v7, vcc_lo
	v_add_f32_e32 v11, v61, v72
	s_delay_alu instid0(VALU_DEP_4) | instskip(SKIP_2) | instid1(VALU_DEP_4)
	v_dual_sub_f32 v61, v73, v2 :: v_dual_add_f32 v60, v60, v79
	v_sub_f32_e32 v72, v74, v2
	v_cmp_nlt_f32_e32 vcc_lo, 0x42b17218, v76
	v_exp_f32_e32 v11, v11
	s_delay_alu instid0(VALU_DEP_3)
	v_mul_f32_e32 v73, 0x3fb8aa3b, v61
	v_exp_f32_e32 v60, v60
	v_mul_f32_e32 v74, 0x3fb8aa3b, v72
	v_cvt_i32_f32_e32 v76, v93
	v_cndmask_b32_e32 v7, 0x7f800000, v7, vcc_lo
	v_fma_f32 v79, 0x3fb8aa3b, v61, -v73
	v_rndne_f32_e32 v93, v73
	v_cvt_i32_f32_e32 v75, v75
	v_fma_f32 v108, 0x3fb8aa3b, v72, -v74
	v_rndne_f32_e32 v112, v74
	v_fmac_f32_e32 v79, 0x32a5705f, v61
	v_ldexp_f32 v60, v60, v76
	v_sub_f32_e32 v73, v73, v93
	v_cmp_ngt_f32_e32 vcc_lo, 0xc2ce8ed0, v62
	v_fmac_f32_e32 v108, 0x32a5705f, v72
	v_sub_f32_e32 v74, v74, v112
	v_ldexp_f32 v11, v11, v75
	v_dual_add_f32 v73, v73, v79 :: v_dual_cndmask_b32 v60, 0, v60
	v_cmp_ngt_f32_e32 vcc_lo, 0xc2ce8ed0, v63
	s_delay_alu instid0(VALU_DEP_4)
	v_add_f32_e32 v74, v74, v108
	v_cvt_i32_f32_e32 v75, v93
	v_cvt_i32_f32_e32 v76, v112
	v_cndmask_b32_e32 v11, 0, v11, vcc_lo
	v_cmp_nlt_f32_e32 vcc_lo, 0x42b17218, v62
	v_exp_f32_e32 v62, v73
	v_exp_f32_e32 v73, v74
	v_mul_f32_e32 v74, 0x3fb8aa3b, v65
	v_cndmask_b32_e32 v60, 0x7f800000, v60, vcc_lo
	v_cmp_nlt_f32_e32 vcc_lo, 0x42b17218, v63
	s_delay_alu instid0(VALU_DEP_3) | instskip(SKIP_2) | instid1(TRANS32_DEP_2)
	v_fma_f32 v79, 0x3fb8aa3b, v65, -v74
	v_rndne_f32_e32 v93, v74
	v_cndmask_b32_e32 v63, 0x7f800000, v11, vcc_lo
	v_ldexp_f32 v62, v62, v75
	v_cmp_ngt_f32_e32 vcc_lo, 0xc2ce8ed0, v61
	s_delay_alu instid0(TRANS32_DEP_1)
	v_ldexp_f32 v73, v73, v76
	v_fmac_f32_e32 v79, 0x32a5705f, v65
	v_sub_f32_e32 v74, v74, v93
	v_cvt_i32_f32_e32 v75, v93
	v_cndmask_b32_e32 v62, 0, v62, vcc_lo
	v_cmp_ngt_f32_e32 vcc_lo, 0xc2ce8ed0, v72
	s_delay_alu instid0(VALU_DEP_4)
	v_dual_mul_f32 v93, 0x3fb8aa3b, v5 :: v_dual_add_f32 v74, v74, v79
	v_add_f32_e32 v11, v60, v7
	v_cvt_f16_f32_e32 v7, v7
	v_cndmask_b32_e32 v73, 0, v73, vcc_lo
	v_cmp_nlt_f32_e32 vcc_lo, 0x42b17218, v61
	v_fma_f32 v112, 0x3fb8aa3b, v5, -v93
	v_rndne_f32_e32 v113, v93
	v_cvt_f16_f32_e32 v78, v78
	v_cndmask_b32_e32 v61, 0x7f800000, v62, vcc_lo
	v_cmp_nlt_f32_e32 vcc_lo, 0x42b17218, v72
	v_exp_f32_e32 v62, v74
	v_fmac_f32_e32 v112, 0x32a5705f, v5
	v_dual_sub_f32 v93, v93, v113 :: v_dual_add_nc_u32 v64, v42, v43
	v_cndmask_b32_e32 v72, 0x7f800000, v73, vcc_lo
	v_mul_f32_e32 v73, 0x3fb8aa3b, v6
	v_cmp_ngt_f32_e32 vcc_lo, 0xc2ce8ed0, v65
	v_cvt_i32_f32_e32 v113, v113
	v_add_f32_e32 v74, v61, v11
	v_cvt_f16_f32_e32 v11, v61
	v_fma_f32 v76, 0x3fb8aa3b, v6, -v73
	v_rndne_f32_e32 v79, v73
	v_ldexp_f32 v62, v62, v75
	v_mul_f32_e32 v75, 0x3fb8aa3b, v4
	v_cvt_f16_f32_e32 v61, v72
	s_delay_alu instid0(VALU_DEP_4) | instskip(NEXT) | instid1(VALU_DEP_4)
	v_dual_fmac_f32 v76, 0x32a5705f, v6 :: v_dual_sub_f32 v73, v73, v79
	v_cndmask_b32_e32 v108, 0, v62, vcc_lo
	v_cvt_i32_f32_e32 v10, v79
	v_add_f32_e32 v79, v93, v112
	v_cmp_ngt_f32_e32 vcc_lo, 0xc2ce8ed0, v6
	v_add_f32_e32 v62, v73, v76
	v_fma_f32 v73, 0x3fb8aa3b, v4, -v75
	v_rndne_f32_e32 v76, v75
	v_mul_f32_e32 v93, 0x3fb8aa3b, v114
	v_add_f32_e32 v72, v72, v74
	v_exp_f32_e32 v62, v62
	v_fmac_f32_e32 v73, 0x32a5705f, v4
	v_sub_f32_e32 v75, v75, v76
	v_rndne_f32_e32 v112, v93
	s_delay_alu instid0(VALU_DEP_2)
	v_add_f32_e32 v73, v75, v73
	v_cvt_f16_f32_e32 v75, v63
	s_waitcnt_depctr 0xfff
	v_ldexp_f32 v10, v62, v10
	v_exp_f32_e32 v62, v73
	v_cvt_i32_f32_e32 v73, v76
	v_exp_f32_e32 v76, v79
	s_delay_alu instid0(VALU_DEP_2) | instskip(SKIP_3) | instid1(TRANS32_DEP_2)
	v_cndmask_b32_e32 v10, 0, v10, vcc_lo
	v_cmp_nlt_f32_e32 vcc_lo, 0x42b17218, v6
	v_fma_f32 v79, 0x3fb8aa3b, v114, -v93
	v_sub_f32_e32 v93, v93, v112
	v_ldexp_f32 v62, v62, v73
	v_cndmask_b32_e32 v73, 0x7f800000, v10, vcc_lo
	v_cmp_ngt_f32_e32 vcc_lo, 0xc2ce8ed0, v4
	s_delay_alu instid0(TRANS32_DEP_1) | instskip(SKIP_3) | instid1(VALU_DEP_3)
	v_ldexp_f32 v6, v76, v113
	v_fmac_f32_e32 v79, 0x32a5705f, v114
	v_cndmask_b32_e32 v62, 0, v62, vcc_lo
	v_cmp_ngt_f32_e32 vcc_lo, 0xc2ce8ed0, v5
	v_add_f32_e32 v10, v93, v79
	v_cndmask_b32_e32 v6, 0, v6, vcc_lo
	v_cmp_nlt_f32_e32 vcc_lo, 0x42b17218, v4
	s_delay_alu instid0(VALU_DEP_3) | instskip(SKIP_4) | instid1(VALU_DEP_3)
	v_exp_f32_e32 v10, v10
	v_cvt_i32_f32_e32 v4, v112
	v_cndmask_b32_e32 v76, 0x7f800000, v62, vcc_lo
	v_cmp_nlt_f32_e32 vcc_lo, 0x42b17218, v5
	v_cvt_f16_f32_e32 v5, v60
	v_cvt_f16_f32_e32 v60, v76
	v_cndmask_b32_e32 v79, 0x7f800000, v6, vcc_lo
	v_cvt_f16_f32_e32 v6, v73
	s_delay_alu instid0(TRANS32_DEP_1)
	v_ldexp_f32 v93, v10, v4
	v_pack_b32_f16 v5, v5, v75
	v_pack_b32_f16 v4, v106, v71
	v_cvt_f16_f32_e32 v62, v79
	v_pack_b32_f16 v7, v7, v6
	v_pack_b32_f16 v6, v68, v67
	;; [unrolled: 1-line block ×6, first 2 shown]
	v_cmp_ngt_f32_e32 vcc_lo, 0xc2ce8ed0, v114
	ds_store_2addr_b64 v64, v[4:5], v[6:7] offset1:32
	ds_store_2addr_b64 v64, v[10:11], v[60:61] offset0:64 offset1:96
	s_waitcnt vmcnt(3)
	ds_store_b128 v44, v[86:89]
	s_waitcnt vmcnt(2)
	ds_store_b128 v45, v[94:97]
	;; [unrolled: 2-line block ×3, first 2 shown]
	v_add_nc_u32_e32 v60, 0x5000, v43
	v_add_f32_e32 v66, v63, v73
	v_cndmask_b32_e32 v67, 0, v93, vcc_lo
	s_waitcnt vmcnt(0)
	ds_store_b128 v47, v[102:105]
	s_waitcnt lgkmcnt(0)
	s_barrier
	buffer_gl0_inv
	ds_load_2addr_b64 v[4:7], v60 offset1:32
	ds_load_b128 v[61:64], v42
	v_cmp_nlt_f32_e32 vcc_lo, 0x42b17218, v65
	v_dual_add_f32 v11, v76, v66 :: v_dual_cndmask_b32 v10, 0x7f800000, v108
	v_cmp_nlt_f32_e32 vcc_lo, 0x42b17218, v114
	s_delay_alu instid0(VALU_DEP_2) | instskip(NEXT) | instid1(VALU_DEP_3)
	v_add_f32_e32 v71, v79, v11
	v_cvt_f16_f32_e32 v78, v10
	v_dual_cndmask_b32 v65, 0x7f800000, v67 :: v_dual_fmac_f32 v72, v9, v10
	s_delay_alu instid0(VALU_DEP_2) | instskip(NEXT) | instid1(VALU_DEP_2)
	v_pk_mul_f16 v56, v78, v56 op_sel_hi:[0,1]
	v_cvt_f16_f32_e32 v9, v65
	v_pk_mul_f16 v54, v78, v54 op_sel_hi:[0,1]
	v_pk_mul_f16 v79, v78, v55 op_sel_hi:[0,1]
	s_waitcnt lgkmcnt(0)
	v_pk_mul_f16 v89, v4, v61 op_sel_hi:[1,0]
	v_pk_mul_f16 v93, v4, v61 op_sel:[0,1]
	v_pk_mul_f16 v55, v9, v51 op_sel_hi:[0,1]
	v_pk_mul_f16 v94, v4, v62 op_sel_hi:[1,0]
	v_fmac_f32_e32 v71, v8, v65
	v_pk_mul_f16 v86, v9, v52 op_sel_hi:[0,1]
	v_pk_mul_f16 v87, v9, v50 op_sel_hi:[0,1]
	v_pk_mul_f16 v88, v9, v49 op_sel_hi:[0,1]
	ds_load_b128 v[8:11], v42 offset:16
	ds_load_2addr_b64 v[49:52], v60 offset0:64 offset1:96
	ds_load_b128 v[65:68], v42 offset:32
	ds_load_b128 v[73:76], v42 offset:48
	v_pk_fma_f16 v59, v110, v59, v89 op_sel_hi:[0,1,1]
	v_pk_fma_f16 v57, v80, v57, v93 op_sel_hi:[0,1,1]
	;; [unrolled: 1-line block ×3, first 2 shown]
	v_pk_fma_f16 v4, v4, v62, v55 op_sel:[0,1,0]
	v_pk_fma_f16 v80, v5, v61, v90 op_sel_hi:[1,0,1]
	v_pk_fma_f16 v89, v5, v61, v91 op_sel:[0,1,0]
	v_pk_fma_f16 v90, v5, v62, v56 op_sel_hi:[1,0,1]
	;; [unrolled: 2-line block ×3, first 2 shown]
	ds_load_2addr_b64 v[53:56], v60 offset0:128 offset1:160
	v_pk_fma_f16 v5, v5, v62, v86 op_sel:[0,1,0]
	v_pk_fma_f16 v86, v6, v61, v111 op_sel_hi:[1,0,1]
	v_pk_fma_f16 v6, v6, v62, v87 op_sel:[0,1,0]
	v_pk_fma_f16 v77, v7, v61, v77 op_sel_hi:[1,0,1]
	;; [unrolled: 2-line block ×3, first 2 shown]
	v_pk_fma_f16 v62, v7, v62, v88 op_sel:[0,1,0]
	s_waitcnt lgkmcnt(3)
	v_pk_fma_f16 v59, v49, v63, v59 op_sel_hi:[1,0,1]
	v_pk_fma_f16 v57, v49, v63, v57 op_sel:[0,1,0]
	v_pk_fma_f16 v78, v49, v64, v78 op_sel_hi:[1,0,1]
	v_pk_fma_f16 v49, v49, v64, v4 op_sel:[0,1,0]
	;; [unrolled: 2-line block ×7, first 2 shown]
	v_pk_fma_f16 v61, v52, v64, v61 op_sel_hi:[1,0,1]
	ds_load_2addr_b64 v[4:7], v60 offset0:192 offset1:224
	v_pk_fma_f16 v62, v52, v64, v62 op_sel:[0,1,0]
	s_waitcnt lgkmcnt(1)
	v_pk_fma_f16 v59, v53, v8, v59 op_sel_hi:[1,0,1]
	v_pk_fma_f16 v57, v53, v8, v57 op_sel:[0,1,0]
	v_pk_fma_f16 v63, v53, v9, v78 op_sel_hi:[1,0,1]
	v_pk_fma_f16 v64, v53, v9, v49 op_sel:[0,1,0]
	v_add_nc_u32_e32 v53, 0x5800, v43
	v_pk_fma_f16 v78, v54, v8, v79 op_sel_hi:[1,0,1]
	v_pk_fma_f16 v79, v54, v8, v80 op_sel:[0,1,0]
	v_pk_fma_f16 v80, v54, v9, v87 op_sel_hi:[1,0,1]
	v_pk_fma_f16 v54, v54, v9, v50 op_sel:[0,1,0]
	;; [unrolled: 2-line block ×4, first 2 shown]
	ds_load_2addr_b64 v[49:52], v53 offset1:32
	v_pk_fma_f16 v77, v56, v8, v77 op_sel_hi:[1,0,1]
	v_pk_fma_f16 v8, v56, v8, v58 op_sel:[0,1,0]
	v_pk_fma_f16 v58, v56, v9, v61 op_sel_hi:[1,0,1]
	v_pk_fma_f16 v9, v56, v9, v62 op_sel:[0,1,0]
	s_waitcnt lgkmcnt(1)
	v_pk_fma_f16 v59, v4, v10, v59 op_sel_hi:[1,0,1]
	v_pk_fma_f16 v61, v4, v10, v57 op_sel:[0,1,0]
	v_pk_fma_f16 v62, v4, v11, v63 op_sel_hi:[1,0,1]
	v_pk_fma_f16 v4, v4, v11, v64 op_sel:[0,1,0]
	;; [unrolled: 2-line block ×6, first 2 shown]
	ds_load_2addr_b64 v[54:57], v53 offset0:64 offset1:96
	v_pk_fma_f16 v77, v7, v10, v77 op_sel_hi:[1,0,1]
	v_pk_fma_f16 v8, v7, v10, v8 op_sel:[0,1,0]
	v_pk_fma_f16 v10, v7, v11, v58 op_sel_hi:[1,0,1]
	v_pk_fma_f16 v9, v7, v11, v9 op_sel:[0,1,0]
	s_waitcnt lgkmcnt(1)
	v_pk_fma_f16 v11, v49, v65, v59 op_sel_hi:[1,0,1]
	v_pk_fma_f16 v58, v49, v65, v61 op_sel:[0,1,0]
	v_pk_fma_f16 v59, v49, v66, v62 op_sel_hi:[1,0,1]
	v_pk_fma_f16 v49, v49, v66, v4 op_sel:[0,1,0]
	;; [unrolled: 2-line block ×6, first 2 shown]
	ds_load_2addr_b64 v[4:7], v53 offset0:128 offset1:160
	v_pk_fma_f16 v77, v52, v65, v77 op_sel_hi:[1,0,1]
	v_pk_fma_f16 v8, v52, v65, v8 op_sel:[0,1,0]
	v_pk_fma_f16 v10, v52, v66, v10 op_sel_hi:[1,0,1]
	v_pk_fma_f16 v9, v52, v66, v9 op_sel:[0,1,0]
	s_waitcnt lgkmcnt(1)
	v_pk_fma_f16 v52, v54, v67, v11 op_sel_hi:[1,0,1]
	v_pk_fma_f16 v58, v54, v67, v58 op_sel:[0,1,0]
	v_pk_fma_f16 v59, v54, v68, v59 op_sel_hi:[1,0,1]
	v_pk_fma_f16 v49, v54, v68, v49 op_sel:[0,1,0]
	;; [unrolled: 2-line block ×8, first 2 shown]
	ds_load_2addr_b64 v[8:11], v53 offset0:192 offset1:224
	s_waitcnt lgkmcnt(1)
	v_pk_fma_f16 v68, v4, v73, v52 op_sel_hi:[1,0,1]
	v_add_nc_u32_e32 v52, 0x6000, v43
	v_pk_fma_f16 v58, v4, v73, v58 op_sel:[0,1,0]
	v_pk_fma_f16 v59, v4, v74, v59 op_sel_hi:[1,0,1]
	v_pk_fma_f16 v4, v4, v74, v49 op_sel:[0,1,0]
	v_pk_fma_f16 v49, v5, v73, v54 op_sel_hi:[1,0,1]
	;; [unrolled: 2-line block ×6, first 2 shown]
	ds_load_2addr_b64 v[54:57], v52 offset1:32
	ds_load_b128 v[61:64], v42 offset:64
	v_pk_fma_f16 v65, v7, v73, v65 op_sel:[0,1,0]
	v_pk_fma_f16 v66, v7, v74, v66 op_sel_hi:[1,0,1]
	v_pk_fma_f16 v7, v7, v74, v67 op_sel:[0,1,0]
	s_waitcnt lgkmcnt(2)
	v_pk_fma_f16 v73, v8, v75, v68 op_sel_hi:[1,0,1]
	v_pk_fma_f16 v58, v8, v75, v58 op_sel:[0,1,0]
	v_pk_fma_f16 v59, v8, v76, v59 op_sel_hi:[1,0,1]
	v_pk_fma_f16 v8, v8, v76, v4 op_sel:[0,1,0]
	;; [unrolled: 2-line block ×7, first 2 shown]
	v_pk_fma_f16 v80, v11, v76, v66 op_sel_hi:[1,0,1]
	ds_load_2addr_b64 v[65:68], v52 offset0:64 offset1:96
	v_pk_fma_f16 v11, v11, v76, v7 op_sel:[0,1,0]
	ds_load_b128 v[4:7], v42 offset:80
	s_waitcnt lgkmcnt(2)
	v_pk_fma_f16 v86, v54, v61, v73 op_sel_hi:[1,0,1]
	v_pk_fma_f16 v58, v54, v61, v58 op_sel:[0,1,0]
	v_pk_fma_f16 v59, v54, v62, v59 op_sel_hi:[1,0,1]
	v_pk_fma_f16 v8, v54, v62, v8 op_sel:[0,1,0]
	;; [unrolled: 2-line block ×6, first 2 shown]
	v_pk_fma_f16 v56, v57, v61, v75 op_sel:[0,1,0]
	ds_load_2addr_b64 v[73:76], v52 offset0:128 offset1:160
	v_pk_fma_f16 v51, v57, v61, v51 op_sel_hi:[1,0,1]
	v_pk_fma_f16 v61, v57, v62, v80 op_sel_hi:[1,0,1]
	v_pk_fma_f16 v57, v57, v62, v11 op_sel:[0,1,0]
	s_waitcnt lgkmcnt(2)
	v_pk_fma_f16 v62, v65, v63, v86 op_sel_hi:[1,0,1]
	v_pk_fma_f16 v58, v65, v63, v58 op_sel:[0,1,0]
	v_pk_fma_f16 v49, v66, v63, v49 op_sel_hi:[1,0,1]
	v_pk_fma_f16 v54, v66, v63, v54 op_sel:[0,1,0]
	;; [unrolled: 2-line block ×8, first 2 shown]
	ds_load_2addr_b64 v[8:11], v52 offset0:192 offset1:224
	s_waitcnt lgkmcnt(1)
	v_pk_fma_f16 v62, v73, v4, v62 op_sel_hi:[1,0,1]
	v_pk_fma_f16 v58, v73, v4, v58 op_sel:[0,1,0]
	v_pk_fma_f16 v49, v74, v4, v49 op_sel_hi:[1,0,1]
	v_pk_fma_f16 v202, v74, v4, v54 op_sel:[0,1,0]
	v_pk_fma_f16 v205, v75, v4, v50 op_sel_hi:[1,0,1]
	v_pk_fma_f16 v206, v75, v4, v55 op_sel:[0,1,0]
	v_pk_fma_f16 v209, v76, v4, v51 op_sel_hi:[1,0,1]
	v_pk_fma_f16 v210, v76, v4, v56 op_sel:[0,1,0]
	v_add_co_u32 v4, vcc_lo, s18, v23
	v_pk_fma_f16 v59, v73, v5, v59 op_sel_hi:[1,0,1]
	v_pk_fma_f16 v63, v73, v5, v65 op_sel:[0,1,0]
	v_pk_fma_f16 v203, v74, v5, v77 op_sel_hi:[1,0,1]
	v_pk_fma_f16 v204, v74, v5, v66 op_sel:[0,1,0]
	;; [unrolled: 2-line block ×4, first 2 shown]
	v_add_co_ci_u32_e32 v5, vcc_lo, s19, v24, vcc_lo
	v_add_co_u32 v186, vcc_lo, s18, v25
	v_add_co_ci_u32_e32 v187, vcc_lo, s19, v26, vcc_lo
	v_add_co_u32 v4, vcc_lo, v4, v39
	s_delay_alu instid0(VALU_DEP_4) | instskip(NEXT) | instid1(VALU_DEP_4)
	v_add_co_ci_u32_e32 v5, vcc_lo, 0, v5, vcc_lo
	v_add_co_u32 v190, vcc_lo, v186, v39
	s_delay_alu instid0(VALU_DEP_4) | instskip(SKIP_4) | instid1(VALU_DEP_4)
	v_add_co_ci_u32_e32 v191, vcc_lo, 0, v187, vcc_lo
	v_add_co_u32 v186, vcc_lo, s18, v27
	v_add_co_ci_u32_e32 v187, vcc_lo, s19, v28, vcc_lo
	v_add_co_u32 v188, vcc_lo, s18, v29
	;; [unrolled: 2-line block ×3, first 2 shown]
	s_waitcnt lgkmcnt(0)
	v_pk_fma_f16 v213, v8, v6, v62 op_sel_hi:[1,0,1]
	v_add_nc_u32_e32 v54, 0x6800, v43
	v_pk_fma_f16 v214, v8, v6, v58 op_sel:[0,1,0]
	v_pk_fma_f16 v59, v8, v7, v59 op_sel_hi:[1,0,1]
	v_pk_fma_f16 v215, v8, v7, v63 op_sel:[0,1,0]
	v_pk_fma_f16 v216, v9, v6, v49 op_sel_hi:[1,0,1]
	v_add_nc_u32_e32 v49, 0x8000, v43
	v_add_nc_u32_e32 v51, 0x7000, v43
	;; [unrolled: 1-line block ×4, first 2 shown]
	v_add_co_ci_u32_e32 v195, vcc_lo, 0, v187, vcc_lo
	v_add_co_u32 v198, vcc_lo, v188, v39
	v_add_co_ci_u32_e32 v199, vcc_lo, 0, v189, vcc_lo
	ds_load_2addr_b64 v[55:58], v54 offset1:32
	ds_load_2addr_b64 v[61:64], v54 offset0:64 offset1:96
	ds_load_2addr_b64 v[65:68], v54 offset0:128 offset1:160
	ds_load_b128 v[73:76], v42 offset:96
	ds_load_b128 v[77:80], v42 offset:112
	ds_load_2addr_b64 v[86:89], v54 offset0:192 offset1:224
	ds_load_2addr_b64 v[90:93], v51 offset1:32
	ds_load_2addr_b64 v[94:97], v51 offset0:64 offset1:96
	ds_load_2addr_b64 v[98:101], v51 offset0:128 offset1:160
	ds_load_b128 v[102:105], v42 offset:128
	ds_load_b128 v[106:109], v42 offset:144
	ds_load_2addr_b64 v[110:113], v51 offset0:192 offset1:224
	;; [unrolled: 6-line block ×5, first 2 shown]
	s_waitcnt lgkmcnt(0)
	s_barrier
	buffer_gl0_inv
	s_clause 0x3
	global_load_b128 v[186:189], v[4:5], off
	global_load_b128 v[190:193], v[190:191], off
	;; [unrolled: 1-line block ×4, first 2 shown]
	v_pk_fma_f16 v4, v9, v6, v202 op_sel:[0,1,0]
	v_pk_fma_f16 v5, v9, v7, v203 op_sel_hi:[1,0,1]
	v_pk_fma_f16 v9, v9, v7, v204 op_sel:[0,1,0]
	v_pk_fma_f16 v202, v10, v6, v205 op_sel_hi:[1,0,1]
	;; [unrolled: 2-line block ×12, first 2 shown]
	v_pk_fma_f16 v6, v58, v73, v6 op_sel:[0,1,0]
	v_pk_fma_f16 v7, v58, v74, v7 op_sel:[0,1,0]
	v_pk_fma_f16 v73, v58, v74, v206 op_sel_hi:[1,0,1]
	v_pk_fma_f16 v58, v61, v75, v207 op_sel:[0,1,0]
	v_pk_fma_f16 v55, v61, v76, v55 op_sel:[0,1,0]
	;; [unrolled: 1-line block ×3, first 2 shown]
	v_pk_fma_f16 v5, v62, v76, v5 op_sel_hi:[1,0,1]
	v_pk_fma_f16 v56, v63, v75, v56 op_sel_hi:[1,0,1]
	;; [unrolled: 1-line block ×3, first 2 shown]
	v_pk_fma_f16 v6, v64, v75, v6 op_sel:[0,1,0]
	v_pk_fma_f16 v7, v64, v76, v7 op_sel:[0,1,0]
	;; [unrolled: 1-line block ×5, first 2 shown]
	v_pk_fma_f16 v5, v66, v78, v5 op_sel_hi:[1,0,1]
	v_pk_fma_f16 v56, v67, v77, v56 op_sel_hi:[1,0,1]
	;; [unrolled: 1-line block ×3, first 2 shown]
	v_pk_fma_f16 v6, v68, v77, v6 op_sel:[0,1,0]
	v_pk_fma_f16 v7, v68, v78, v7 op_sel:[0,1,0]
	v_pk_fma_f16 v11, v61, v75, v11 op_sel_hi:[1,0,1]
	v_pk_fma_f16 v59, v61, v76, v59 op_sel_hi:[1,0,1]
	;; [unrolled: 1-line block ×3, first 2 shown]
	v_pk_fma_f16 v58, v86, v79, v58 op_sel:[0,1,0]
	v_pk_fma_f16 v55, v86, v80, v55 op_sel:[0,1,0]
	;; [unrolled: 1-line block ×3, first 2 shown]
	v_pk_fma_f16 v5, v87, v80, v5 op_sel_hi:[1,0,1]
	v_pk_fma_f16 v56, v88, v79, v56 op_sel_hi:[1,0,1]
	;; [unrolled: 1-line block ×3, first 2 shown]
	v_pk_fma_f16 v6, v89, v79, v6 op_sel:[0,1,0]
	v_pk_fma_f16 v7, v89, v80, v7 op_sel:[0,1,0]
	;; [unrolled: 1-line block ×4, first 2 shown]
	v_pk_fma_f16 v74, v63, v76, v203 op_sel_hi:[1,0,1]
	v_pk_fma_f16 v10, v63, v76, v10 op_sel:[0,1,0]
	v_pk_fma_f16 v63, v64, v76, v73 op_sel_hi:[1,0,1]
	v_pk_fma_f16 v11, v65, v77, v11 op_sel_hi:[1,0,1]
	;; [unrolled: 1-line block ×4, first 2 shown]
	v_pk_fma_f16 v58, v90, v102, v58 op_sel:[0,1,0]
	v_pk_fma_f16 v55, v90, v103, v55 op_sel:[0,1,0]
	;; [unrolled: 1-line block ×3, first 2 shown]
	v_pk_fma_f16 v5, v91, v103, v5 op_sel_hi:[1,0,1]
	v_pk_fma_f16 v56, v92, v102, v56 op_sel_hi:[1,0,1]
	;; [unrolled: 1-line block ×3, first 2 shown]
	v_pk_fma_f16 v6, v93, v102, v6 op_sel:[0,1,0]
	v_pk_fma_f16 v7, v93, v103, v7 op_sel:[0,1,0]
	;; [unrolled: 1-line block ×3, first 2 shown]
	v_pk_fma_f16 v64, v67, v78, v74 op_sel_hi:[1,0,1]
	v_pk_fma_f16 v63, v68, v78, v63 op_sel_hi:[1,0,1]
	;; [unrolled: 1-line block ×5, first 2 shown]
	v_pk_fma_f16 v58, v94, v104, v58 op_sel:[0,1,0]
	v_pk_fma_f16 v55, v94, v105, v55 op_sel:[0,1,0]
	v_pk_fma_f16 v4, v95, v104, v4 op_sel:[0,1,0]
	v_pk_fma_f16 v5, v95, v105, v5 op_sel_hi:[1,0,1]
	v_pk_fma_f16 v56, v96, v104, v56 op_sel_hi:[1,0,1]
	v_pk_fma_f16 v57, v97, v104, v57 op_sel_hi:[1,0,1]
	v_pk_fma_f16 v6, v97, v104, v6 op_sel:[0,1,0]
	v_pk_fma_f16 v7, v97, v105, v7 op_sel:[0,1,0]
	v_pk_fma_f16 v62, v88, v79, v62 op_sel:[0,1,0]
	v_pk_fma_f16 v64, v88, v80, v64 op_sel_hi:[1,0,1]
	v_pk_fma_f16 v63, v89, v80, v63 op_sel_hi:[1,0,1]
	v_pk_fma_f16 v9, v66, v78, v9 op_sel:[0,1,0]
	v_pk_fma_f16 v10, v67, v78, v10 op_sel:[0,1,0]
	v_pk_fma_f16 v11, v90, v102, v11 op_sel_hi:[1,0,1]
	v_pk_fma_f16 v59, v90, v103, v59 op_sel_hi:[1,0,1]
	v_pk_fma_f16 v61, v91, v102, v61 op_sel_hi:[1,0,1]
	v_pk_fma_f16 v58, v98, v106, v58 op_sel:[0,1,0]
	v_pk_fma_f16 v55, v98, v107, v55 op_sel:[0,1,0]
	v_pk_fma_f16 v4, v99, v106, v4 op_sel:[0,1,0]
	v_pk_fma_f16 v5, v99, v107, v5 op_sel_hi:[1,0,1]
	v_pk_fma_f16 v56, v100, v106, v56 op_sel_hi:[1,0,1]
	v_pk_fma_f16 v57, v101, v106, v57 op_sel_hi:[1,0,1]
	v_pk_fma_f16 v6, v101, v106, v6 op_sel:[0,1,0]
	v_pk_fma_f16 v7, v101, v107, v7 op_sel:[0,1,0]
	v_pk_fma_f16 v62, v92, v102, v62 op_sel:[0,1,0]
	v_pk_fma_f16 v64, v92, v103, v64 op_sel_hi:[1,0,1]
	v_pk_fma_f16 v63, v93, v103, v63 op_sel_hi:[1,0,1]
	v_pk_fma_f16 v9, v87, v80, v9 op_sel:[0,1,0]
	v_pk_fma_f16 v10, v88, v80, v10 op_sel:[0,1,0]
	v_pk_fma_f16 v11, v94, v104, v11 op_sel_hi:[1,0,1]
	v_pk_fma_f16 v59, v94, v105, v59 op_sel_hi:[1,0,1]
	v_pk_fma_f16 v61, v95, v104, v61 op_sel_hi:[1,0,1]
	v_pk_fma_f16 v58, v110, v108, v58 op_sel:[0,1,0]
	v_pk_fma_f16 v55, v110, v109, v55 op_sel:[0,1,0]
	v_pk_fma_f16 v4, v111, v108, v4 op_sel:[0,1,0]
	v_pk_fma_f16 v5, v111, v109, v5 op_sel_hi:[1,0,1]
	v_pk_fma_f16 v56, v112, v108, v56 op_sel_hi:[1,0,1]
	v_pk_fma_f16 v57, v113, v108, v57 op_sel_hi:[1,0,1]
	v_pk_fma_f16 v6, v113, v108, v6 op_sel:[0,1,0]
	v_pk_fma_f16 v7, v113, v109, v7 op_sel:[0,1,0]
	v_pk_fma_f16 v62, v96, v104, v62 op_sel:[0,1,0]
	v_pk_fma_f16 v64, v96, v105, v64 op_sel_hi:[1,0,1]
	v_pk_fma_f16 v63, v97, v105, v63 op_sel_hi:[1,0,1]
	v_pk_fma_f16 v9, v91, v103, v9 op_sel:[0,1,0]
	v_pk_fma_f16 v10, v92, v103, v10 op_sel:[0,1,0]
	v_pk_fma_f16 v11, v98, v106, v11 op_sel_hi:[1,0,1]
	v_pk_fma_f16 v59, v98, v107, v59 op_sel_hi:[1,0,1]
	v_pk_fma_f16 v61, v99, v106, v61 op_sel_hi:[1,0,1]
	v_pk_fma_f16 v58, v114, v126, v58 op_sel:[0,1,0]
	v_pk_fma_f16 v55, v114, v127, v55 op_sel:[0,1,0]
	v_pk_fma_f16 v4, v115, v126, v4 op_sel:[0,1,0]
	v_pk_fma_f16 v5, v115, v127, v5 op_sel_hi:[1,0,1]
	v_pk_fma_f16 v56, v116, v126, v56 op_sel_hi:[1,0,1]
	v_pk_fma_f16 v57, v117, v126, v57 op_sel_hi:[1,0,1]
	v_pk_fma_f16 v6, v117, v126, v6 op_sel:[0,1,0]
	v_pk_fma_f16 v7, v117, v127, v7 op_sel:[0,1,0]
	v_pk_fma_f16 v62, v100, v106, v62 op_sel:[0,1,0]
	v_pk_fma_f16 v64, v100, v107, v64 op_sel_hi:[1,0,1]
	v_pk_fma_f16 v63, v101, v107, v63 op_sel_hi:[1,0,1]
	v_pk_fma_f16 v9, v95, v105, v9 op_sel:[0,1,0]
	v_pk_fma_f16 v10, v96, v105, v10 op_sel:[0,1,0]
	v_pk_fma_f16 v11, v110, v108, v11 op_sel_hi:[1,0,1]
	v_pk_fma_f16 v59, v110, v109, v59 op_sel_hi:[1,0,1]
	v_pk_fma_f16 v61, v111, v108, v61 op_sel_hi:[1,0,1]
	v_pk_fma_f16 v58, v118, v128, v58 op_sel:[0,1,0]
	v_pk_fma_f16 v55, v118, v129, v55 op_sel:[0,1,0]
	v_pk_fma_f16 v4, v119, v128, v4 op_sel:[0,1,0]
	v_pk_fma_f16 v5, v119, v129, v5 op_sel_hi:[1,0,1]
	v_pk_fma_f16 v56, v120, v128, v56 op_sel_hi:[1,0,1]
	v_pk_fma_f16 v57, v121, v128, v57 op_sel_hi:[1,0,1]
	v_pk_fma_f16 v6, v121, v128, v6 op_sel:[0,1,0]
	v_pk_fma_f16 v7, v121, v129, v7 op_sel:[0,1,0]
	v_pk_fma_f16 v62, v112, v108, v62 op_sel:[0,1,0]
	v_pk_fma_f16 v64, v112, v109, v64 op_sel_hi:[1,0,1]
	v_pk_fma_f16 v63, v113, v109, v63 op_sel_hi:[1,0,1]
	v_pk_fma_f16 v9, v99, v107, v9 op_sel:[0,1,0]
	v_pk_fma_f16 v10, v100, v107, v10 op_sel:[0,1,0]
	v_pk_fma_f16 v11, v114, v126, v11 op_sel_hi:[1,0,1]
	v_pk_fma_f16 v59, v114, v127, v59 op_sel_hi:[1,0,1]
	v_pk_fma_f16 v61, v115, v126, v61 op_sel_hi:[1,0,1]
	v_pk_fma_f16 v58, v122, v130, v58 op_sel:[0,1,0]
	v_pk_fma_f16 v55, v122, v131, v55 op_sel:[0,1,0]
	v_pk_fma_f16 v4, v123, v130, v4 op_sel:[0,1,0]
	v_pk_fma_f16 v5, v123, v131, v5 op_sel_hi:[1,0,1]
	v_pk_fma_f16 v56, v124, v130, v56 op_sel_hi:[1,0,1]
	v_pk_fma_f16 v57, v125, v130, v57 op_sel_hi:[1,0,1]
	v_pk_fma_f16 v6, v125, v130, v6 op_sel:[0,1,0]
	v_pk_fma_f16 v7, v125, v131, v7 op_sel:[0,1,0]
	v_pk_fma_f16 v62, v116, v126, v62 op_sel:[0,1,0]
	v_pk_fma_f16 v64, v116, v127, v64 op_sel_hi:[1,0,1]
	v_pk_fma_f16 v63, v117, v127, v63 op_sel_hi:[1,0,1]
	v_pk_fma_f16 v9, v111, v109, v9 op_sel:[0,1,0]
	v_pk_fma_f16 v10, v112, v109, v10 op_sel:[0,1,0]
	v_pk_fma_f16 v11, v118, v128, v11 op_sel_hi:[1,0,1]
	v_pk_fma_f16 v59, v118, v129, v59 op_sel_hi:[1,0,1]
	v_pk_fma_f16 v61, v119, v128, v61 op_sel_hi:[1,0,1]
	v_pk_fma_f16 v58, v134, v132, v58 op_sel:[0,1,0]
	v_pk_fma_f16 v55, v134, v133, v55 op_sel:[0,1,0]
	v_pk_fma_f16 v4, v135, v132, v4 op_sel:[0,1,0]
	v_pk_fma_f16 v5, v135, v133, v5 op_sel_hi:[1,0,1]
	v_pk_fma_f16 v56, v136, v132, v56 op_sel_hi:[1,0,1]
	v_pk_fma_f16 v57, v137, v132, v57 op_sel_hi:[1,0,1]
	v_pk_fma_f16 v6, v137, v132, v6 op_sel:[0,1,0]
	v_pk_fma_f16 v7, v137, v133, v7 op_sel:[0,1,0]
	v_pk_fma_f16 v62, v120, v128, v62 op_sel:[0,1,0]
	v_pk_fma_f16 v64, v120, v129, v64 op_sel_hi:[1,0,1]
	v_pk_fma_f16 v63, v121, v129, v63 op_sel_hi:[1,0,1]
	v_pk_fma_f16 v9, v115, v127, v9 op_sel:[0,1,0]
	v_pk_fma_f16 v10, v116, v127, v10 op_sel:[0,1,0]
	v_pk_fma_f16 v11, v122, v130, v11 op_sel_hi:[1,0,1]
	v_pk_fma_f16 v59, v122, v131, v59 op_sel_hi:[1,0,1]
	v_pk_fma_f16 v61, v123, v130, v61 op_sel_hi:[1,0,1]
	v_pk_fma_f16 v58, v138, v150, v58 op_sel:[0,1,0]
	v_pk_fma_f16 v55, v138, v151, v55 op_sel:[0,1,0]
	v_pk_fma_f16 v4, v139, v150, v4 op_sel:[0,1,0]
	v_pk_fma_f16 v5, v139, v151, v5 op_sel_hi:[1,0,1]
	v_pk_fma_f16 v56, v140, v150, v56 op_sel_hi:[1,0,1]
	v_pk_fma_f16 v57, v141, v150, v57 op_sel_hi:[1,0,1]
	v_pk_fma_f16 v6, v141, v150, v6 op_sel:[0,1,0]
	v_pk_fma_f16 v7, v141, v151, v7 op_sel:[0,1,0]
	v_pk_fma_f16 v62, v124, v130, v62 op_sel:[0,1,0]
	v_pk_fma_f16 v64, v124, v131, v64 op_sel_hi:[1,0,1]
	v_pk_fma_f16 v63, v125, v131, v63 op_sel_hi:[1,0,1]
	v_pk_fma_f16 v9, v119, v129, v9 op_sel:[0,1,0]
	v_pk_fma_f16 v10, v120, v129, v10 op_sel:[0,1,0]
	v_pk_fma_f16 v11, v134, v132, v11 op_sel_hi:[1,0,1]
	v_pk_fma_f16 v59, v134, v133, v59 op_sel_hi:[1,0,1]
	v_pk_fma_f16 v61, v135, v132, v61 op_sel_hi:[1,0,1]
	v_pk_fma_f16 v58, v142, v152, v58 op_sel:[0,1,0]
	v_pk_fma_f16 v55, v142, v153, v55 op_sel:[0,1,0]
	v_pk_fma_f16 v4, v143, v152, v4 op_sel:[0,1,0]
	v_pk_fma_f16 v5, v143, v153, v5 op_sel_hi:[1,0,1]
	v_pk_fma_f16 v56, v144, v152, v56 op_sel_hi:[1,0,1]
	v_pk_fma_f16 v57, v145, v152, v57 op_sel_hi:[1,0,1]
	v_pk_fma_f16 v6, v145, v152, v6 op_sel:[0,1,0]
	v_pk_fma_f16 v7, v145, v153, v7 op_sel:[0,1,0]
	v_pk_fma_f16 v62, v136, v132, v62 op_sel:[0,1,0]
	v_pk_fma_f16 v64, v136, v133, v64 op_sel_hi:[1,0,1]
	v_pk_fma_f16 v63, v137, v133, v63 op_sel_hi:[1,0,1]
	v_pk_fma_f16 v9, v123, v131, v9 op_sel:[0,1,0]
	v_pk_fma_f16 v10, v124, v131, v10 op_sel:[0,1,0]
	v_pk_fma_f16 v11, v138, v150, v11 op_sel_hi:[1,0,1]
	v_pk_fma_f16 v59, v138, v151, v59 op_sel_hi:[1,0,1]
	v_pk_fma_f16 v61, v139, v150, v61 op_sel_hi:[1,0,1]
	v_pk_fma_f16 v58, v146, v154, v58 op_sel:[0,1,0]
	v_pk_fma_f16 v55, v146, v155, v55 op_sel:[0,1,0]
	v_pk_fma_f16 v4, v147, v154, v4 op_sel:[0,1,0]
	v_pk_fma_f16 v5, v147, v155, v5 op_sel_hi:[1,0,1]
	v_pk_fma_f16 v56, v148, v154, v56 op_sel_hi:[1,0,1]
	v_pk_fma_f16 v57, v149, v154, v57 op_sel_hi:[1,0,1]
	v_pk_fma_f16 v6, v149, v154, v6 op_sel:[0,1,0]
	v_pk_fma_f16 v7, v149, v155, v7 op_sel:[0,1,0]
	v_pk_fma_f16 v62, v140, v150, v62 op_sel:[0,1,0]
	v_pk_fma_f16 v64, v140, v151, v64 op_sel_hi:[1,0,1]
	v_pk_fma_f16 v63, v141, v151, v63 op_sel_hi:[1,0,1]
	v_pk_fma_f16 v9, v135, v133, v9 op_sel:[0,1,0]
	v_pk_fma_f16 v10, v136, v133, v10 op_sel:[0,1,0]
	v_pk_fma_f16 v11, v142, v152, v11 op_sel_hi:[1,0,1]
	v_pk_fma_f16 v59, v142, v153, v59 op_sel_hi:[1,0,1]
	v_pk_fma_f16 v61, v143, v152, v61 op_sel_hi:[1,0,1]
	v_pk_fma_f16 v58, v158, v156, v58 op_sel:[0,1,0]
	v_pk_fma_f16 v55, v158, v157, v55 op_sel:[0,1,0]
	v_pk_fma_f16 v4, v159, v156, v4 op_sel:[0,1,0]
	v_pk_fma_f16 v5, v159, v157, v5 op_sel_hi:[1,0,1]
	v_pk_fma_f16 v56, v160, v156, v56 op_sel_hi:[1,0,1]
	v_pk_fma_f16 v57, v161, v156, v57 op_sel_hi:[1,0,1]
	v_pk_fma_f16 v6, v161, v156, v6 op_sel:[0,1,0]
	v_pk_fma_f16 v7, v161, v157, v7 op_sel:[0,1,0]
	v_pk_fma_f16 v62, v144, v152, v62 op_sel:[0,1,0]
	v_pk_fma_f16 v64, v144, v153, v64 op_sel_hi:[1,0,1]
	v_pk_fma_f16 v63, v145, v153, v63 op_sel_hi:[1,0,1]
	v_pk_fma_f16 v9, v139, v151, v9 op_sel:[0,1,0]
	v_pk_fma_f16 v10, v140, v151, v10 op_sel:[0,1,0]
	v_pk_fma_f16 v11, v146, v154, v11 op_sel_hi:[1,0,1]
	v_pk_fma_f16 v59, v146, v155, v59 op_sel_hi:[1,0,1]
	v_pk_fma_f16 v61, v147, v154, v61 op_sel_hi:[1,0,1]
	v_pk_fma_f16 v58, v162, v174, v58 op_sel:[0,1,0]
	v_pk_fma_f16 v55, v162, v175, v55 op_sel:[0,1,0]
	v_pk_fma_f16 v4, v163, v174, v4 op_sel:[0,1,0]
	v_pk_fma_f16 v5, v163, v175, v5 op_sel_hi:[1,0,1]
	v_pk_fma_f16 v56, v164, v174, v56 op_sel_hi:[1,0,1]
	v_pk_fma_f16 v57, v165, v174, v57 op_sel_hi:[1,0,1]
	v_pk_fma_f16 v6, v165, v174, v6 op_sel:[0,1,0]
	v_pk_fma_f16 v7, v165, v175, v7 op_sel:[0,1,0]
	v_pk_fma_f16 v62, v148, v154, v62 op_sel:[0,1,0]
	v_pk_fma_f16 v64, v148, v155, v64 op_sel_hi:[1,0,1]
	v_pk_fma_f16 v63, v149, v155, v63 op_sel_hi:[1,0,1]
	v_pk_fma_f16 v9, v143, v153, v9 op_sel:[0,1,0]
	v_pk_fma_f16 v10, v144, v153, v10 op_sel:[0,1,0]
	v_pk_fma_f16 v11, v158, v156, v11 op_sel_hi:[1,0,1]
	v_pk_fma_f16 v59, v158, v157, v59 op_sel_hi:[1,0,1]
	v_pk_fma_f16 v61, v159, v156, v61 op_sel_hi:[1,0,1]
	v_pk_fma_f16 v58, v166, v176, v58 op_sel:[0,1,0]
	v_pk_fma_f16 v55, v166, v177, v55 op_sel:[0,1,0]
	v_pk_fma_f16 v4, v167, v176, v4 op_sel:[0,1,0]
	v_pk_fma_f16 v5, v167, v177, v5 op_sel_hi:[1,0,1]
	v_pk_fma_f16 v56, v168, v176, v56 op_sel_hi:[1,0,1]
	v_pk_fma_f16 v57, v169, v176, v57 op_sel_hi:[1,0,1]
	v_pk_fma_f16 v6, v169, v176, v6 op_sel:[0,1,0]
	v_pk_fma_f16 v7, v169, v177, v7 op_sel:[0,1,0]
	v_pk_fma_f16 v62, v160, v156, v62 op_sel:[0,1,0]
	v_pk_fma_f16 v64, v160, v157, v64 op_sel_hi:[1,0,1]
	v_pk_fma_f16 v63, v161, v157, v63 op_sel_hi:[1,0,1]
	v_pk_fma_f16 v9, v147, v155, v9 op_sel:[0,1,0]
	v_pk_fma_f16 v10, v148, v155, v10 op_sel:[0,1,0]
	v_pk_fma_f16 v11, v162, v174, v11 op_sel_hi:[1,0,1]
	v_pk_fma_f16 v59, v162, v175, v59 op_sel_hi:[1,0,1]
	v_pk_fma_f16 v61, v163, v174, v61 op_sel_hi:[1,0,1]
	v_pk_fma_f16 v65, v170, v178, v58 op_sel:[0,1,0]
	v_pk_fma_f16 v66, v170, v179, v55 op_sel:[0,1,0]
	;; [unrolled: 1-line block ×3, first 2 shown]
	v_pk_fma_f16 v68, v171, v179, v5 op_sel_hi:[1,0,1]
	v_pk_fma_f16 v73, v172, v178, v56 op_sel_hi:[1,0,1]
	;; [unrolled: 1-line block ×3, first 2 shown]
	v_pk_fma_f16 v75, v173, v178, v6 op_sel:[0,1,0]
	v_pk_fma_f16 v76, v173, v179, v7 op_sel:[0,1,0]
	s_waitcnt vmcnt(3)
	ds_store_b128 v44, v[186:189]
	s_waitcnt vmcnt(2)
	ds_store_b128 v45, v[190:193]
	;; [unrolled: 2-line block ×4, first 2 shown]
	s_waitcnt lgkmcnt(0)
	s_barrier
	buffer_gl0_inv
	ds_load_2addr_b64 v[4:7], v60 offset1:32
	ds_load_b128 v[55:58], v42 offset:256
	v_pk_fma_f16 v62, v164, v174, v62 op_sel:[0,1,0]
	v_pk_fma_f16 v64, v164, v175, v64 op_sel_hi:[1,0,1]
	v_pk_fma_f16 v63, v165, v175, v63 op_sel_hi:[1,0,1]
	v_pk_fma_f16 v9, v159, v157, v9 op_sel:[0,1,0]
	v_pk_fma_f16 v10, v160, v157, v10 op_sel:[0,1,0]
	v_pk_fma_f16 v11, v166, v176, v11 op_sel_hi:[1,0,1]
	v_pk_fma_f16 v59, v166, v177, v59 op_sel_hi:[1,0,1]
	;; [unrolled: 1-line block ×3, first 2 shown]
	v_pk_fma_f16 v62, v168, v176, v62 op_sel:[0,1,0]
	v_pk_fma_f16 v64, v168, v177, v64 op_sel_hi:[1,0,1]
	v_pk_fma_f16 v63, v169, v177, v63 op_sel_hi:[1,0,1]
	v_pk_fma_f16 v9, v163, v175, v9 op_sel:[0,1,0]
	v_pk_fma_f16 v10, v164, v175, v10 op_sel:[0,1,0]
	v_pk_fma_f16 v11, v170, v178, v11 op_sel_hi:[1,0,1]
	v_pk_fma_f16 v59, v170, v179, v59 op_sel_hi:[1,0,1]
	;; [unrolled: 1-line block ×3, first 2 shown]
	v_pk_fma_f16 v62, v172, v178, v62 op_sel:[0,1,0]
	v_pk_fma_f16 v64, v172, v179, v64 op_sel_hi:[1,0,1]
	v_pk_fma_f16 v63, v173, v179, v63 op_sel_hi:[1,0,1]
	v_pk_fma_f16 v9, v167, v177, v9 op_sel:[0,1,0]
	v_pk_fma_f16 v10, v168, v177, v10 op_sel:[0,1,0]
	v_pk_fma_f16 v11, v182, v180, v11 op_sel_hi:[1,0,1]
	v_pk_fma_f16 v86, v182, v180, v65 op_sel:[0,1,0]
	v_pk_fma_f16 v59, v182, v181, v59 op_sel_hi:[1,0,1]
	;; [unrolled: 2-line block ×4, first 2 shown]
	v_pk_fma_f16 v91, v184, v180, v73 op_sel_hi:[1,0,1]
	v_pk_fma_f16 v92, v184, v180, v62 op_sel:[0,1,0]
	v_pk_fma_f16 v93, v184, v181, v64 op_sel_hi:[1,0,1]
	v_pk_fma_f16 v94, v185, v180, v74 op_sel_hi:[1,0,1]
	v_pk_fma_f16 v95, v185, v180, v75 op_sel:[0,1,0]
	v_pk_fma_f16 v96, v185, v181, v63 op_sel_hi:[1,0,1]
	v_pk_fma_f16 v97, v185, v181, v76 op_sel:[0,1,0]
	ds_load_b128 v[61:64], v42 offset:272
	ds_load_2addr_b64 v[65:68], v60 offset0:64 offset1:96
	ds_load_b128 v[73:76], v42 offset:288
	ds_load_b128 v[77:80], v42 offset:304
	v_pk_fma_f16 v9, v171, v179, v9 op_sel:[0,1,0]
	v_pk_fma_f16 v10, v172, v179, v10 op_sel:[0,1,0]
	s_waitcnt lgkmcnt(4)
	v_pk_fma_f16 v11, v4, v55, v11 op_sel_hi:[1,0,1]
	v_pk_fma_f16 v98, v4, v55, v86 op_sel:[0,1,0]
	v_pk_fma_f16 v59, v4, v56, v59 op_sel_hi:[1,0,1]
	v_pk_fma_f16 v4, v4, v56, v87 op_sel:[0,1,0]
	;; [unrolled: 2-line block ×3, first 2 shown]
	ds_load_2addr_b64 v[86:89], v60 offset0:128 offset1:160
	v_pk_fma_f16 v9, v183, v181, v9 op_sel:[0,1,0]
	v_pk_fma_f16 v10, v184, v181, v10 op_sel:[0,1,0]
	v_pk_fma_f16 v90, v5, v56, v90 op_sel_hi:[1,0,1]
	s_or_b32 s18, s4, 64
	s_delay_alu instid0(VALU_DEP_3)
	v_pk_fma_f16 v5, v5, v56, v9 op_sel:[0,1,0]
	v_pk_fma_f16 v9, v6, v55, v91 op_sel_hi:[1,0,1]
	v_pk_fma_f16 v91, v6, v55, v92 op_sel:[0,1,0]
	v_pk_fma_f16 v92, v6, v56, v93 op_sel_hi:[1,0,1]
	;; [unrolled: 2-line block ×4, first 2 shown]
	v_pk_fma_f16 v56, v7, v56, v97 op_sel:[0,1,0]
	s_waitcnt lgkmcnt(3)
	v_pk_fma_f16 v11, v65, v57, v11 op_sel_hi:[1,0,1]
	v_pk_fma_f16 v94, v65, v57, v98 op_sel:[0,1,0]
	v_pk_fma_f16 v59, v65, v58, v59 op_sel_hi:[1,0,1]
	v_pk_fma_f16 v65, v65, v58, v4 op_sel:[0,1,0]
	;; [unrolled: 2-line block ×7, first 2 shown]
	ds_load_2addr_b64 v[4:7], v60 offset0:192 offset1:224
	v_pk_fma_f16 v93, v68, v58, v93 op_sel_hi:[1,0,1]
	v_pk_fma_f16 v68, v68, v58, v56 op_sel:[0,1,0]
	s_waitcnt lgkmcnt(1)
	v_pk_fma_f16 v11, v86, v61, v11 op_sel_hi:[1,0,1]
	v_pk_fma_f16 v94, v86, v61, v94 op_sel:[0,1,0]
	v_pk_fma_f16 v59, v86, v62, v59 op_sel_hi:[1,0,1]
	v_pk_fma_f16 v65, v86, v62, v65 op_sel:[0,1,0]
	;; [unrolled: 2-line block ×6, first 2 shown]
	ds_load_2addr_b64 v[55:58], v53 offset1:32
	v_pk_fma_f16 v91, v88, v62, v92 op_sel_hi:[1,0,1]
	v_pk_fma_f16 v67, v88, v62, v67 op_sel:[0,1,0]
	v_pk_fma_f16 v88, v89, v62, v93 op_sel_hi:[1,0,1]
	v_pk_fma_f16 v62, v89, v62, v68 op_sel:[0,1,0]
	s_waitcnt lgkmcnt(1)
	v_pk_fma_f16 v11, v4, v63, v11 op_sel_hi:[1,0,1]
	v_pk_fma_f16 v89, v4, v63, v94 op_sel:[0,1,0]
	v_pk_fma_f16 v59, v4, v64, v59 op_sel_hi:[1,0,1]
	v_pk_fma_f16 v4, v4, v64, v65 op_sel:[0,1,0]
	;; [unrolled: 2-line block ×6, first 2 shown]
	ds_load_2addr_b64 v[65:68], v53 offset0:64 offset1:96
	v_pk_fma_f16 v10, v7, v63, v10 op_sel_hi:[1,0,1]
	v_pk_fma_f16 v61, v7, v63, v61 op_sel:[0,1,0]
	v_pk_fma_f16 v63, v7, v64, v88 op_sel_hi:[1,0,1]
	v_pk_fma_f16 v62, v7, v64, v62 op_sel:[0,1,0]
	s_waitcnt lgkmcnt(1)
	v_pk_fma_f16 v11, v55, v73, v11 op_sel_hi:[1,0,1]
	v_pk_fma_f16 v64, v55, v73, v89 op_sel:[0,1,0]
	v_pk_fma_f16 v59, v55, v74, v59 op_sel_hi:[1,0,1]
	v_pk_fma_f16 v55, v55, v74, v4 op_sel:[0,1,0]
	;; [unrolled: 2-line block ×6, first 2 shown]
	ds_load_2addr_b64 v[4:7], v53 offset0:128 offset1:160
	v_pk_fma_f16 v10, v58, v73, v10 op_sel_hi:[1,0,1]
	v_pk_fma_f16 v61, v58, v73, v61 op_sel:[0,1,0]
	v_pk_fma_f16 v63, v58, v74, v63 op_sel_hi:[1,0,1]
	v_pk_fma_f16 v62, v58, v74, v62 op_sel:[0,1,0]
	s_waitcnt lgkmcnt(1)
	v_pk_fma_f16 v11, v65, v75, v11 op_sel_hi:[1,0,1]
	v_pk_fma_f16 v64, v65, v75, v64 op_sel:[0,1,0]
	v_pk_fma_f16 v59, v65, v76, v59 op_sel_hi:[1,0,1]
	v_pk_fma_f16 v65, v65, v76, v55 op_sel:[0,1,0]
	;; [unrolled: 2-line block ×7, first 2 shown]
	v_pk_fma_f16 v63, v68, v76, v63 op_sel_hi:[1,0,1]
	ds_load_2addr_b64 v[55:58], v53 offset0:192 offset1:224
	v_pk_fma_f16 v75, v68, v76, v62 op_sel:[0,1,0]
	s_waitcnt lgkmcnt(1)
	v_pk_fma_f16 v11, v4, v77, v11 op_sel_hi:[1,0,1]
	v_pk_fma_f16 v76, v4, v77, v64 op_sel:[0,1,0]
	v_pk_fma_f16 v59, v4, v78, v59 op_sel_hi:[1,0,1]
	v_pk_fma_f16 v4, v4, v78, v65 op_sel:[0,1,0]
	v_pk_fma_f16 v73, v5, v77, v73 op_sel_hi:[1,0,1]
	v_pk_fma_f16 v74, v5, v77, v74 op_sel:[0,1,0]
	v_pk_fma_f16 v86, v5, v78, v86 op_sel_hi:[1,0,1]
	v_pk_fma_f16 v5, v5, v78, v66 op_sel:[0,1,0]
	v_pk_fma_f16 v9, v6, v77, v9 op_sel_hi:[1,0,1]
	v_pk_fma_f16 v87, v6, v77, v87 op_sel:[0,1,0]
	v_pk_fma_f16 v88, v6, v78, v88 op_sel_hi:[1,0,1]
	v_pk_fma_f16 v6, v6, v78, v67 op_sel:[0,1,0]
	v_pk_fma_f16 v10, v7, v77, v10 op_sel_hi:[1,0,1]
	v_pk_fma_f16 v77, v7, v77, v61 op_sel:[0,1,0]
	v_pk_fma_f16 v89, v7, v78, v63 op_sel_hi:[1,0,1]
	ds_load_2addr_b64 v[61:64], v52 offset1:32
	ds_load_b128 v[65:68], v42 offset:320
	v_pk_fma_f16 v7, v7, v78, v75 op_sel:[0,1,0]
	s_mul_hi_i32 s19, s18, s5
	s_waitcnt lgkmcnt(2)
	v_pk_fma_f16 v11, v55, v79, v11 op_sel_hi:[1,0,1]
	v_pk_fma_f16 v78, v55, v79, v76 op_sel:[0,1,0]
	v_pk_fma_f16 v59, v55, v80, v59 op_sel_hi:[1,0,1]
	v_pk_fma_f16 v55, v55, v80, v4 op_sel:[0,1,0]
	;; [unrolled: 2-line block ×6, first 2 shown]
	ds_load_2addr_b64 v[73:76], v52 offset0:64 offset1:96
	v_pk_fma_f16 v10, v58, v79, v10 op_sel_hi:[1,0,1]
	v_pk_fma_f16 v77, v58, v79, v77 op_sel:[0,1,0]
	v_pk_fma_f16 v79, v58, v80, v89 op_sel_hi:[1,0,1]
	v_pk_fma_f16 v80, v58, v80, v7 op_sel:[0,1,0]
	ds_load_b128 v[4:7], v42 offset:336
	s_waitcnt lgkmcnt(2)
	v_pk_fma_f16 v11, v61, v65, v11 op_sel_hi:[1,0,1]
	v_pk_fma_f16 v78, v61, v65, v78 op_sel:[0,1,0]
	v_pk_fma_f16 v59, v61, v66, v59 op_sel_hi:[1,0,1]
	v_pk_fma_f16 v61, v61, v66, v55 op_sel:[0,1,0]
	;; [unrolled: 2-line block ×6, first 2 shown]
	ds_load_2addr_b64 v[55:58], v52 offset0:128 offset1:160
	v_pk_fma_f16 v10, v64, v65, v10 op_sel_hi:[1,0,1]
	v_pk_fma_f16 v65, v64, v65, v77 op_sel:[0,1,0]
	v_pk_fma_f16 v77, v64, v66, v79 op_sel_hi:[1,0,1]
	v_pk_fma_f16 v66, v64, v66, v80 op_sel:[0,1,0]
	s_mul_i32 s18, s18, s5
	s_waitcnt lgkmcnt(2)
	v_pk_fma_f16 v11, v73, v67, v11 op_sel_hi:[1,0,1]
	v_pk_fma_f16 v78, v73, v67, v78 op_sel:[0,1,0]
	v_pk_fma_f16 v59, v73, v68, v59 op_sel_hi:[1,0,1]
	v_pk_fma_f16 v73, v73, v68, v61 op_sel:[0,1,0]
	v_pk_fma_f16 v79, v74, v67, v89 op_sel_hi:[1,0,1]
	v_pk_fma_f16 v80, v74, v67, v90 op_sel:[0,1,0]
	v_pk_fma_f16 v9, v75, v67, v9 op_sel_hi:[1,0,1]
	v_pk_fma_f16 v87, v75, v67, v87 op_sel:[0,1,0]
	v_pk_fma_f16 v10, v76, v67, v10 op_sel_hi:[1,0,1]
	v_pk_fma_f16 v65, v76, v67, v65 op_sel:[0,1,0]
	s_lshl_b64 s[18:19], s[18:19], 2
	v_pk_fma_f16 v86, v74, v68, v86 op_sel_hi:[1,0,1]
	v_pk_fma_f16 v74, v74, v68, v62 op_sel:[0,1,0]
	v_pk_fma_f16 v88, v75, v68, v88 op_sel_hi:[1,0,1]
	v_pk_fma_f16 v75, v75, v68, v63 op_sel:[0,1,0]
	;; [unrolled: 2-line block ×3, first 2 shown]
	s_add_u32 s18, s11, s18
	s_waitcnt lgkmcnt(0)
	v_pk_fma_f16 v11, v55, v4, v11 op_sel_hi:[1,0,1]
	v_pk_fma_f16 v68, v55, v4, v78 op_sel:[0,1,0]
	v_pk_fma_f16 v59, v55, v5, v59 op_sel_hi:[1,0,1]
	v_pk_fma_f16 v55, v55, v5, v73 op_sel:[0,1,0]
	;; [unrolled: 2-line block ×5, first 2 shown]
	s_addc_u32 s19, s13, s19
	v_add_co_u32 v4, vcc_lo, s18, v23
	v_pk_fma_f16 v207, v56, v5, v86 op_sel_hi:[1,0,1]
	v_pk_fma_f16 v208, v56, v5, v74 op_sel:[0,1,0]
	v_pk_fma_f16 v211, v57, v5, v88 op_sel_hi:[1,0,1]
	v_pk_fma_f16 v212, v57, v5, v75 op_sel:[0,1,0]
	;; [unrolled: 2-line block ×3, first 2 shown]
	v_add_co_ci_u32_e32 v5, vcc_lo, s19, v24, vcc_lo
	v_add_co_u32 v9, vcc_lo, s18, v25
	ds_load_2addr_b64 v[61:64], v52 offset0:192 offset1:224
	v_add_co_ci_u32_e32 v10, vcc_lo, s19, v26, vcc_lo
	v_add_co_u32 v4, vcc_lo, v4, v39
	v_add_co_ci_u32_e32 v5, vcc_lo, 0, v5, vcc_lo
	v_add_co_u32 v9, vcc_lo, v9, v39
	s_delay_alu instid0(VALU_DEP_4) | instskip(SKIP_4) | instid1(VALU_DEP_4)
	v_add_co_ci_u32_e32 v10, vcc_lo, 0, v10, vcc_lo
	v_add_co_u32 v190, vcc_lo, s18, v27
	v_add_co_ci_u32_e32 v191, vcc_lo, s19, v28, vcc_lo
	v_add_co_u32 v192, vcc_lo, s18, v29
	;; [unrolled: 2-line block ×3, first 2 shown]
	s_delay_alu instid0(VALU_DEP_4) | instskip(NEXT) | instid1(VALU_DEP_4)
	v_add_co_ci_u32_e32 v199, vcc_lo, 0, v191, vcc_lo
	v_add_co_u32 v202, vcc_lo, v192, v39
	s_delay_alu instid0(VALU_DEP_4)
	v_add_co_ci_u32_e32 v203, vcc_lo, 0, v193, vcc_lo
	s_waitcnt lgkmcnt(0)
	v_pk_fma_f16 v11, v61, v6, v11 op_sel_hi:[1,0,1]
	v_pk_fma_f16 v217, v61, v6, v68 op_sel:[0,1,0]
	v_pk_fma_f16 v59, v61, v7, v59 op_sel_hi:[1,0,1]
	v_pk_fma_f16 v61, v61, v7, v55 op_sel:[0,1,0]
	v_pk_fma_f16 v218, v62, v6, v73 op_sel_hi:[1,0,1]
	ds_load_2addr_b64 v[55:58], v54 offset1:32
	ds_load_2addr_b64 v[65:68], v54 offset0:64 offset1:96
	ds_load_2addr_b64 v[73:76], v54 offset0:128 offset1:160
	ds_load_b128 v[77:80], v42 offset:352
	ds_load_b128 v[86:89], v42 offset:368
	ds_load_2addr_b64 v[90:93], v54 offset0:192 offset1:224
	ds_load_2addr_b64 v[94:97], v51 offset1:32
	ds_load_2addr_b64 v[98:101], v51 offset0:64 offset1:96
	ds_load_2addr_b64 v[102:105], v51 offset0:128 offset1:160
	ds_load_b128 v[106:109], v42 offset:384
	ds_load_b128 v[110:113], v42 offset:400
	ds_load_2addr_b64 v[114:117], v51 offset0:192 offset1:224
	;; [unrolled: 6-line block ×5, first 2 shown]
	s_waitcnt lgkmcnt(0)
	s_barrier
	buffer_gl0_inv
	s_clause 0x3
	global_load_b128 v[190:193], v[4:5], off
	global_load_b128 v[194:197], v[9:10], off
	;; [unrolled: 1-line block ×4, first 2 shown]
	v_pk_fma_f16 v4, v62, v6, v206 op_sel:[0,1,0]
	v_pk_fma_f16 v5, v62, v7, v207 op_sel_hi:[1,0,1]
	v_pk_fma_f16 v9, v62, v7, v208 op_sel:[0,1,0]
	v_pk_fma_f16 v10, v63, v6, v209 op_sel_hi:[1,0,1]
	;; [unrolled: 2-line block ×11, first 2 shown]
	v_pk_fma_f16 v57, v57, v78, v63 op_sel:[0,1,0]
	v_pk_fma_f16 v6, v58, v77, v6 op_sel:[0,1,0]
	;; [unrolled: 1-line block ×3, first 2 shown]
	v_pk_fma_f16 v63, v58, v77, v207 op_sel_hi:[1,0,1]
	v_pk_fma_f16 v77, v58, v78, v208 op_sel_hi:[1,0,1]
	v_pk_fma_f16 v58, v65, v79, v64 op_sel:[0,1,0]
	v_pk_fma_f16 v55, v65, v80, v55 op_sel:[0,1,0]
	;; [unrolled: 1-line block ×3, first 2 shown]
	v_pk_fma_f16 v5, v66, v80, v5 op_sel_hi:[1,0,1]
	v_pk_fma_f16 v56, v67, v79, v56 op_sel:[0,1,0]
	v_pk_fma_f16 v57, v67, v80, v57 op_sel:[0,1,0]
	;; [unrolled: 1-line block ×7, first 2 shown]
	v_pk_fma_f16 v5, v74, v87, v5 op_sel_hi:[1,0,1]
	v_pk_fma_f16 v56, v75, v86, v56 op_sel:[0,1,0]
	v_pk_fma_f16 v57, v75, v87, v57 op_sel:[0,1,0]
	;; [unrolled: 1-line block ×4, first 2 shown]
	v_pk_fma_f16 v11, v65, v79, v11 op_sel_hi:[1,0,1]
	v_pk_fma_f16 v59, v65, v80, v59 op_sel_hi:[1,0,1]
	;; [unrolled: 1-line block ×3, first 2 shown]
	v_pk_fma_f16 v58, v90, v88, v58 op_sel:[0,1,0]
	v_pk_fma_f16 v55, v90, v89, v55 op_sel:[0,1,0]
	;; [unrolled: 1-line block ×3, first 2 shown]
	v_pk_fma_f16 v5, v91, v89, v5 op_sel_hi:[1,0,1]
	v_pk_fma_f16 v56, v92, v88, v56 op_sel:[0,1,0]
	v_pk_fma_f16 v57, v92, v89, v57 op_sel:[0,1,0]
	;; [unrolled: 1-line block ×4, first 2 shown]
	v_pk_fma_f16 v62, v67, v80, v62 op_sel_hi:[1,0,1]
	v_pk_fma_f16 v63, v68, v79, v63 op_sel_hi:[1,0,1]
	;; [unrolled: 1-line block ×6, first 2 shown]
	v_pk_fma_f16 v58, v94, v106, v58 op_sel:[0,1,0]
	v_pk_fma_f16 v55, v94, v107, v55 op_sel:[0,1,0]
	v_pk_fma_f16 v4, v95, v106, v4 op_sel:[0,1,0]
	v_pk_fma_f16 v5, v95, v107, v5 op_sel_hi:[1,0,1]
	v_pk_fma_f16 v56, v96, v106, v56 op_sel:[0,1,0]
	v_pk_fma_f16 v57, v96, v107, v57 op_sel:[0,1,0]
	v_pk_fma_f16 v6, v97, v106, v6 op_sel:[0,1,0]
	v_pk_fma_f16 v7, v97, v107, v7 op_sel:[0,1,0]
	v_pk_fma_f16 v62, v75, v87, v62 op_sel_hi:[1,0,1]
	v_pk_fma_f16 v63, v76, v86, v63 op_sel_hi:[1,0,1]
	v_pk_fma_f16 v64, v76, v87, v64 op_sel_hi:[1,0,1]
	v_pk_fma_f16 v9, v66, v80, v9 op_sel:[0,1,0]
	v_pk_fma_f16 v10, v67, v79, v10 op_sel_hi:[1,0,1]
	v_pk_fma_f16 v11, v90, v88, v11 op_sel_hi:[1,0,1]
	v_pk_fma_f16 v59, v90, v89, v59 op_sel_hi:[1,0,1]
	v_pk_fma_f16 v61, v91, v88, v61 op_sel_hi:[1,0,1]
	v_pk_fma_f16 v58, v98, v108, v58 op_sel:[0,1,0]
	v_pk_fma_f16 v55, v98, v109, v55 op_sel:[0,1,0]
	v_pk_fma_f16 v4, v99, v108, v4 op_sel:[0,1,0]
	v_pk_fma_f16 v5, v99, v109, v5 op_sel_hi:[1,0,1]
	v_pk_fma_f16 v56, v100, v108, v56 op_sel:[0,1,0]
	v_pk_fma_f16 v57, v100, v109, v57 op_sel:[0,1,0]
	v_pk_fma_f16 v6, v101, v108, v6 op_sel:[0,1,0]
	v_pk_fma_f16 v7, v101, v109, v7 op_sel:[0,1,0]
	v_pk_fma_f16 v62, v92, v89, v62 op_sel_hi:[1,0,1]
	v_pk_fma_f16 v63, v93, v88, v63 op_sel_hi:[1,0,1]
	v_pk_fma_f16 v64, v93, v89, v64 op_sel_hi:[1,0,1]
	v_pk_fma_f16 v9, v74, v87, v9 op_sel:[0,1,0]
	v_pk_fma_f16 v10, v75, v86, v10 op_sel_hi:[1,0,1]
	v_pk_fma_f16 v11, v94, v106, v11 op_sel_hi:[1,0,1]
	v_pk_fma_f16 v59, v94, v107, v59 op_sel_hi:[1,0,1]
	v_pk_fma_f16 v61, v95, v106, v61 op_sel_hi:[1,0,1]
	;; [unrolled: 16-line block ×14, first 2 shown]
	v_pk_fma_f16 v65, v174, v182, v58 op_sel:[0,1,0]
	v_pk_fma_f16 v66, v174, v183, v55 op_sel:[0,1,0]
	;; [unrolled: 1-line block ×3, first 2 shown]
	v_pk_fma_f16 v68, v175, v183, v5 op_sel_hi:[1,0,1]
	v_pk_fma_f16 v73, v176, v182, v56 op_sel:[0,1,0]
	v_pk_fma_f16 v74, v176, v183, v57 op_sel:[0,1,0]
	;; [unrolled: 1-line block ×4, first 2 shown]
	s_waitcnt vmcnt(3)
	ds_store_b128 v44, v[190:193]
	s_waitcnt vmcnt(2)
	ds_store_b128 v45, v[194:197]
	;; [unrolled: 2-line block ×4, first 2 shown]
	s_waitcnt lgkmcnt(0)
	s_barrier
	buffer_gl0_inv
	ds_load_2addr_b64 v[4:7], v60 offset1:32
	ds_load_b128 v[55:58], v42 offset:512
	v_pk_fma_f16 v62, v168, v179, v62 op_sel_hi:[1,0,1]
	v_pk_fma_f16 v63, v169, v178, v63 op_sel_hi:[1,0,1]
	v_pk_fma_f16 v64, v169, v179, v64 op_sel_hi:[1,0,1]
	v_pk_fma_f16 v9, v163, v161, v9 op_sel:[0,1,0]
	v_pk_fma_f16 v10, v164, v160, v10 op_sel_hi:[1,0,1]
	v_pk_fma_f16 v11, v170, v180, v11 op_sel_hi:[1,0,1]
	;; [unrolled: 1-line block ×7, first 2 shown]
	v_pk_fma_f16 v9, v167, v179, v9 op_sel:[0,1,0]
	v_pk_fma_f16 v10, v168, v178, v10 op_sel_hi:[1,0,1]
	v_pk_fma_f16 v11, v174, v182, v11 op_sel_hi:[1,0,1]
	;; [unrolled: 1-line block ×7, first 2 shown]
	v_pk_fma_f16 v9, v171, v181, v9 op_sel:[0,1,0]
	v_pk_fma_f16 v10, v172, v180, v10 op_sel_hi:[1,0,1]
	v_pk_fma_f16 v11, v186, v184, v11 op_sel_hi:[1,0,1]
	v_pk_fma_f16 v86, v186, v184, v65 op_sel:[0,1,0]
	v_pk_fma_f16 v59, v186, v185, v59 op_sel_hi:[1,0,1]
	v_pk_fma_f16 v87, v186, v185, v66 op_sel:[0,1,0]
	;; [unrolled: 2-line block ×7, first 2 shown]
	ds_load_b128 v[61:64], v42 offset:528
	ds_load_2addr_b64 v[65:68], v60 offset0:64 offset1:96
	ds_load_b128 v[73:76], v42 offset:544
	ds_load_b128 v[77:80], v42 offset:560
	v_pk_fma_f16 v9, v175, v183, v9 op_sel:[0,1,0]
	v_pk_fma_f16 v10, v176, v182, v10 op_sel_hi:[1,0,1]
	s_waitcnt lgkmcnt(4)
	v_pk_fma_f16 v11, v4, v55, v11 op_sel_hi:[1,0,1]
	v_pk_fma_f16 v98, v4, v55, v86 op_sel:[0,1,0]
	v_pk_fma_f16 v59, v4, v56, v59 op_sel_hi:[1,0,1]
	v_pk_fma_f16 v4, v4, v56, v87 op_sel:[0,1,0]
	;; [unrolled: 2-line block ×3, first 2 shown]
	ds_load_2addr_b64 v[86:89], v60 offset0:128 offset1:160
	v_pk_fma_f16 v9, v187, v185, v9 op_sel:[0,1,0]
	v_pk_fma_f16 v10, v188, v184, v10 op_sel_hi:[1,0,1]
	v_pk_fma_f16 v90, v5, v56, v90 op_sel_hi:[1,0,1]
	s_or_b32 s18, s4, 0x60
	s_delay_alu instid0(VALU_DEP_3) | instskip(NEXT) | instid1(VALU_DEP_3)
	v_pk_fma_f16 v5, v5, v56, v9 op_sel:[0,1,0]
	v_pk_fma_f16 v9, v6, v55, v10 op_sel_hi:[1,0,1]
	v_pk_fma_f16 v10, v6, v55, v91 op_sel:[0,1,0]
	v_pk_fma_f16 v91, v6, v56, v92 op_sel_hi:[1,0,1]
	;; [unrolled: 2-line block ×4, first 2 shown]
	v_pk_fma_f16 v56, v7, v56, v97 op_sel:[0,1,0]
	s_waitcnt lgkmcnt(3)
	v_pk_fma_f16 v11, v65, v57, v11 op_sel_hi:[1,0,1]
	v_pk_fma_f16 v94, v65, v57, v98 op_sel:[0,1,0]
	v_pk_fma_f16 v59, v65, v58, v59 op_sel_hi:[1,0,1]
	v_pk_fma_f16 v65, v65, v58, v4 op_sel:[0,1,0]
	;; [unrolled: 2-line block ×7, first 2 shown]
	ds_load_2addr_b64 v[4:7], v60 offset0:192 offset1:224
	v_pk_fma_f16 v93, v68, v58, v93 op_sel_hi:[1,0,1]
	v_pk_fma_f16 v68, v68, v58, v56 op_sel:[0,1,0]
	s_waitcnt lgkmcnt(1)
	v_pk_fma_f16 v11, v86, v61, v11 op_sel_hi:[1,0,1]
	v_pk_fma_f16 v94, v86, v61, v94 op_sel:[0,1,0]
	v_pk_fma_f16 v59, v86, v62, v59 op_sel_hi:[1,0,1]
	v_pk_fma_f16 v65, v86, v62, v65 op_sel:[0,1,0]
	v_pk_fma_f16 v86, v87, v61, v95 op_sel_hi:[1,0,1]
	v_pk_fma_f16 v95, v87, v61, v96 op_sel:[0,1,0]
	v_pk_fma_f16 v90, v87, v62, v90 op_sel_hi:[1,0,1]
	v_pk_fma_f16 v66, v87, v62, v66 op_sel:[0,1,0]
	v_pk_fma_f16 v9, v88, v61, v9 op_sel_hi:[1,0,1]
	v_pk_fma_f16 v10, v88, v61, v10 op_sel:[0,1,0]
	v_pk_fma_f16 v87, v88, v62, v91 op_sel_hi:[1,0,1]
	v_pk_fma_f16 v67, v88, v62, v67 op_sel:[0,1,0]
	v_pk_fma_f16 v88, v89, v61, v92 op_sel_hi:[1,0,1]
	v_pk_fma_f16 v61, v89, v61, v55 op_sel:[0,1,0]
	ds_load_2addr_b64 v[55:58], v53 offset1:32
	v_pk_fma_f16 v91, v89, v62, v93 op_sel_hi:[1,0,1]
	v_pk_fma_f16 v62, v89, v62, v68 op_sel:[0,1,0]
	s_waitcnt lgkmcnt(1)
	v_pk_fma_f16 v11, v4, v63, v11 op_sel_hi:[1,0,1]
	v_pk_fma_f16 v89, v4, v63, v94 op_sel:[0,1,0]
	v_pk_fma_f16 v59, v4, v64, v59 op_sel_hi:[1,0,1]
	v_pk_fma_f16 v4, v4, v64, v65 op_sel:[0,1,0]
	;; [unrolled: 2-line block ×6, first 2 shown]
	ds_load_2addr_b64 v[65:68], v53 offset0:64 offset1:96
	v_pk_fma_f16 v88, v7, v63, v88 op_sel_hi:[1,0,1]
	v_pk_fma_f16 v61, v7, v63, v61 op_sel:[0,1,0]
	v_pk_fma_f16 v63, v7, v64, v91 op_sel_hi:[1,0,1]
	v_pk_fma_f16 v62, v7, v64, v62 op_sel:[0,1,0]
	s_waitcnt lgkmcnt(1)
	v_pk_fma_f16 v11, v55, v73, v11 op_sel_hi:[1,0,1]
	v_pk_fma_f16 v64, v55, v73, v89 op_sel:[0,1,0]
	v_pk_fma_f16 v59, v55, v74, v59 op_sel_hi:[1,0,1]
	v_pk_fma_f16 v55, v55, v74, v4 op_sel:[0,1,0]
	v_pk_fma_f16 v86, v56, v73, v86 op_sel_hi:[1,0,1]
	v_pk_fma_f16 v89, v56, v73, v92 op_sel:[0,1,0]
	v_pk_fma_f16 v90, v56, v74, v90 op_sel_hi:[1,0,1]
	v_pk_fma_f16 v56, v56, v74, v5 op_sel:[0,1,0]
	v_pk_fma_f16 v9, v57, v73, v9 op_sel_hi:[1,0,1]
	v_pk_fma_f16 v10, v57, v73, v10 op_sel:[0,1,0]
	v_pk_fma_f16 v87, v57, v74, v87 op_sel_hi:[1,0,1]
	v_pk_fma_f16 v57, v57, v74, v6 op_sel:[0,1,0]
	ds_load_2addr_b64 v[4:7], v53 offset0:128 offset1:160
	v_pk_fma_f16 v88, v58, v73, v88 op_sel_hi:[1,0,1]
	v_pk_fma_f16 v61, v58, v73, v61 op_sel:[0,1,0]
	v_pk_fma_f16 v63, v58, v74, v63 op_sel_hi:[1,0,1]
	v_pk_fma_f16 v62, v58, v74, v62 op_sel:[0,1,0]
	s_waitcnt lgkmcnt(1)
	v_pk_fma_f16 v11, v65, v75, v11 op_sel_hi:[1,0,1]
	v_pk_fma_f16 v64, v65, v75, v64 op_sel:[0,1,0]
	v_pk_fma_f16 v59, v65, v76, v59 op_sel_hi:[1,0,1]
	v_pk_fma_f16 v65, v65, v76, v55 op_sel:[0,1,0]
	;; [unrolled: 2-line block ×7, first 2 shown]
	v_pk_fma_f16 v63, v68, v76, v63 op_sel_hi:[1,0,1]
	ds_load_2addr_b64 v[55:58], v53 offset0:192 offset1:224
	v_pk_fma_f16 v75, v68, v76, v62 op_sel:[0,1,0]
	s_waitcnt lgkmcnt(1)
	v_pk_fma_f16 v11, v4, v77, v11 op_sel_hi:[1,0,1]
	v_pk_fma_f16 v76, v4, v77, v64 op_sel:[0,1,0]
	v_pk_fma_f16 v59, v4, v78, v59 op_sel_hi:[1,0,1]
	v_pk_fma_f16 v4, v4, v78, v65 op_sel:[0,1,0]
	;; [unrolled: 2-line block ×7, first 2 shown]
	v_pk_fma_f16 v89, v7, v78, v63 op_sel_hi:[1,0,1]
	ds_load_2addr_b64 v[61:64], v52 offset1:32
	ds_load_b128 v[65:68], v42 offset:576
	v_pk_fma_f16 v7, v7, v78, v75 op_sel:[0,1,0]
	s_mul_hi_i32 s19, s18, s5
	s_waitcnt lgkmcnt(2)
	v_pk_fma_f16 v11, v55, v79, v11 op_sel_hi:[1,0,1]
	v_pk_fma_f16 v78, v55, v79, v76 op_sel:[0,1,0]
	v_pk_fma_f16 v59, v55, v80, v59 op_sel_hi:[1,0,1]
	v_pk_fma_f16 v55, v55, v80, v4 op_sel:[0,1,0]
	;; [unrolled: 2-line block ×6, first 2 shown]
	ds_load_2addr_b64 v[73:76], v52 offset0:64 offset1:96
	v_pk_fma_f16 v88, v58, v79, v88 op_sel_hi:[1,0,1]
	v_pk_fma_f16 v77, v58, v79, v77 op_sel:[0,1,0]
	v_pk_fma_f16 v79, v58, v80, v89 op_sel_hi:[1,0,1]
	v_pk_fma_f16 v80, v58, v80, v7 op_sel:[0,1,0]
	ds_load_b128 v[4:7], v42 offset:592
	s_waitcnt lgkmcnt(2)
	v_pk_fma_f16 v11, v61, v65, v11 op_sel_hi:[1,0,1]
	v_pk_fma_f16 v78, v61, v65, v78 op_sel:[0,1,0]
	v_pk_fma_f16 v59, v61, v66, v59 op_sel_hi:[1,0,1]
	v_pk_fma_f16 v61, v61, v66, v55 op_sel:[0,1,0]
	;; [unrolled: 2-line block ×6, first 2 shown]
	ds_load_2addr_b64 v[55:58], v52 offset0:128 offset1:160
	v_pk_fma_f16 v88, v64, v65, v88 op_sel_hi:[1,0,1]
	v_pk_fma_f16 v65, v64, v65, v77 op_sel:[0,1,0]
	v_pk_fma_f16 v77, v64, v66, v79 op_sel_hi:[1,0,1]
	v_pk_fma_f16 v66, v64, v66, v80 op_sel:[0,1,0]
	s_mul_i32 s18, s18, s5
	s_waitcnt lgkmcnt(2)
	v_pk_fma_f16 v11, v73, v67, v11 op_sel_hi:[1,0,1]
	v_pk_fma_f16 v78, v73, v67, v78 op_sel:[0,1,0]
	v_pk_fma_f16 v59, v73, v68, v59 op_sel_hi:[1,0,1]
	v_pk_fma_f16 v73, v73, v68, v61 op_sel:[0,1,0]
	;; [unrolled: 2-line block ×5, first 2 shown]
	s_lshl_b64 s[18:19], s[18:19], 2
	v_pk_fma_f16 v86, v74, v68, v86 op_sel_hi:[1,0,1]
	v_pk_fma_f16 v74, v74, v68, v62 op_sel:[0,1,0]
	v_pk_fma_f16 v87, v75, v68, v87 op_sel_hi:[1,0,1]
	v_pk_fma_f16 v75, v75, v68, v63 op_sel:[0,1,0]
	;; [unrolled: 2-line block ×3, first 2 shown]
	s_add_u32 s18, s11, s18
	s_waitcnt lgkmcnt(0)
	v_pk_fma_f16 v11, v55, v4, v11 op_sel_hi:[1,0,1]
	v_pk_fma_f16 v68, v55, v4, v78 op_sel:[0,1,0]
	v_pk_fma_f16 v59, v55, v5, v59 op_sel_hi:[1,0,1]
	v_pk_fma_f16 v55, v55, v5, v73 op_sel:[0,1,0]
	;; [unrolled: 2-line block ×5, first 2 shown]
	s_addc_u32 s19, s13, s19
	v_add_co_u32 v4, vcc_lo, s18, v23
	v_pk_fma_f16 v207, v56, v5, v86 op_sel_hi:[1,0,1]
	v_pk_fma_f16 v208, v56, v5, v74 op_sel:[0,1,0]
	v_pk_fma_f16 v211, v57, v5, v87 op_sel_hi:[1,0,1]
	v_pk_fma_f16 v212, v57, v5, v75 op_sel:[0,1,0]
	;; [unrolled: 2-line block ×3, first 2 shown]
	v_add_co_ci_u32_e32 v5, vcc_lo, s19, v24, vcc_lo
	v_add_co_u32 v9, vcc_lo, s18, v25
	ds_load_2addr_b64 v[61:64], v52 offset0:192 offset1:224
	v_add_co_ci_u32_e32 v10, vcc_lo, s19, v26, vcc_lo
	v_add_co_u32 v4, vcc_lo, v4, v39
	v_add_co_ci_u32_e32 v5, vcc_lo, 0, v5, vcc_lo
	v_add_co_u32 v9, vcc_lo, v9, v39
	s_delay_alu instid0(VALU_DEP_4) | instskip(SKIP_4) | instid1(VALU_DEP_4)
	v_add_co_ci_u32_e32 v10, vcc_lo, 0, v10, vcc_lo
	v_add_co_u32 v190, vcc_lo, s18, v27
	v_add_co_ci_u32_e32 v191, vcc_lo, s19, v28, vcc_lo
	v_add_co_u32 v192, vcc_lo, s18, v29
	;; [unrolled: 2-line block ×3, first 2 shown]
	s_delay_alu instid0(VALU_DEP_4) | instskip(NEXT) | instid1(VALU_DEP_4)
	v_add_co_ci_u32_e32 v199, vcc_lo, 0, v191, vcc_lo
	v_add_co_u32 v202, vcc_lo, v192, v39
	s_delay_alu instid0(VALU_DEP_4)
	v_add_co_ci_u32_e32 v203, vcc_lo, 0, v193, vcc_lo
	s_waitcnt lgkmcnt(0)
	v_pk_fma_f16 v11, v61, v6, v11 op_sel_hi:[1,0,1]
	v_pk_fma_f16 v217, v61, v6, v68 op_sel:[0,1,0]
	v_pk_fma_f16 v59, v61, v7, v59 op_sel_hi:[1,0,1]
	v_pk_fma_f16 v61, v61, v7, v55 op_sel:[0,1,0]
	v_pk_fma_f16 v218, v62, v6, v73 op_sel_hi:[1,0,1]
	ds_load_2addr_b64 v[55:58], v54 offset1:32
	ds_load_2addr_b64 v[65:68], v54 offset0:64 offset1:96
	ds_load_2addr_b64 v[73:76], v54 offset0:128 offset1:160
	ds_load_b128 v[77:80], v42 offset:608
	ds_load_b128 v[86:89], v42 offset:624
	ds_load_2addr_b64 v[90:93], v54 offset0:192 offset1:224
	ds_load_2addr_b64 v[94:97], v51 offset1:32
	ds_load_2addr_b64 v[98:101], v51 offset0:64 offset1:96
	ds_load_2addr_b64 v[102:105], v51 offset0:128 offset1:160
	ds_load_b128 v[106:109], v42 offset:640
	ds_load_b128 v[110:113], v42 offset:656
	ds_load_2addr_b64 v[114:117], v51 offset0:192 offset1:224
	;; [unrolled: 6-line block ×5, first 2 shown]
	s_waitcnt lgkmcnt(0)
	s_barrier
	buffer_gl0_inv
	s_clause 0x3
	global_load_b128 v[190:193], v[4:5], off
	global_load_b128 v[194:197], v[9:10], off
	;; [unrolled: 1-line block ×4, first 2 shown]
	v_pk_fma_f16 v4, v62, v6, v206 op_sel:[0,1,0]
	v_pk_fma_f16 v5, v62, v7, v207 op_sel_hi:[1,0,1]
	v_pk_fma_f16 v9, v62, v7, v208 op_sel:[0,1,0]
	v_pk_fma_f16 v10, v63, v6, v209 op_sel_hi:[1,0,1]
	;; [unrolled: 2-line block ×11, first 2 shown]
	v_pk_fma_f16 v57, v57, v78, v63 op_sel:[0,1,0]
	v_pk_fma_f16 v6, v58, v77, v6 op_sel:[0,1,0]
	v_pk_fma_f16 v7, v58, v78, v7 op_sel:[0,1,0]
	v_pk_fma_f16 v63, v58, v77, v207 op_sel_hi:[1,0,1]
	v_pk_fma_f16 v77, v58, v78, v208 op_sel_hi:[1,0,1]
	v_pk_fma_f16 v58, v65, v79, v64 op_sel:[0,1,0]
	v_pk_fma_f16 v55, v65, v80, v55 op_sel:[0,1,0]
	;; [unrolled: 1-line block ×3, first 2 shown]
	v_pk_fma_f16 v5, v66, v80, v5 op_sel_hi:[1,0,1]
	v_pk_fma_f16 v56, v67, v79, v56 op_sel:[0,1,0]
	v_pk_fma_f16 v57, v67, v80, v57 op_sel:[0,1,0]
	;; [unrolled: 1-line block ×7, first 2 shown]
	v_pk_fma_f16 v5, v74, v87, v5 op_sel_hi:[1,0,1]
	v_pk_fma_f16 v56, v75, v86, v56 op_sel:[0,1,0]
	v_pk_fma_f16 v57, v75, v87, v57 op_sel:[0,1,0]
	;; [unrolled: 1-line block ×4, first 2 shown]
	v_pk_fma_f16 v11, v65, v79, v11 op_sel_hi:[1,0,1]
	v_pk_fma_f16 v59, v65, v80, v59 op_sel_hi:[1,0,1]
	;; [unrolled: 1-line block ×3, first 2 shown]
	v_pk_fma_f16 v58, v90, v88, v58 op_sel:[0,1,0]
	v_pk_fma_f16 v55, v90, v89, v55 op_sel:[0,1,0]
	;; [unrolled: 1-line block ×3, first 2 shown]
	v_pk_fma_f16 v5, v91, v89, v5 op_sel_hi:[1,0,1]
	v_pk_fma_f16 v56, v92, v88, v56 op_sel:[0,1,0]
	v_pk_fma_f16 v57, v92, v89, v57 op_sel:[0,1,0]
	;; [unrolled: 1-line block ×4, first 2 shown]
	v_pk_fma_f16 v62, v67, v80, v62 op_sel_hi:[1,0,1]
	v_pk_fma_f16 v63, v68, v79, v63 op_sel_hi:[1,0,1]
	;; [unrolled: 1-line block ×6, first 2 shown]
	v_pk_fma_f16 v58, v94, v106, v58 op_sel:[0,1,0]
	v_pk_fma_f16 v55, v94, v107, v55 op_sel:[0,1,0]
	v_pk_fma_f16 v4, v95, v106, v4 op_sel:[0,1,0]
	v_pk_fma_f16 v5, v95, v107, v5 op_sel_hi:[1,0,1]
	v_pk_fma_f16 v56, v96, v106, v56 op_sel:[0,1,0]
	v_pk_fma_f16 v57, v96, v107, v57 op_sel:[0,1,0]
	v_pk_fma_f16 v6, v97, v106, v6 op_sel:[0,1,0]
	v_pk_fma_f16 v7, v97, v107, v7 op_sel:[0,1,0]
	v_pk_fma_f16 v62, v75, v87, v62 op_sel_hi:[1,0,1]
	v_pk_fma_f16 v63, v76, v86, v63 op_sel_hi:[1,0,1]
	v_pk_fma_f16 v64, v76, v87, v64 op_sel_hi:[1,0,1]
	v_pk_fma_f16 v9, v66, v80, v9 op_sel:[0,1,0]
	v_pk_fma_f16 v10, v67, v79, v10 op_sel_hi:[1,0,1]
	v_pk_fma_f16 v11, v90, v88, v11 op_sel_hi:[1,0,1]
	v_pk_fma_f16 v59, v90, v89, v59 op_sel_hi:[1,0,1]
	v_pk_fma_f16 v61, v91, v88, v61 op_sel_hi:[1,0,1]
	v_pk_fma_f16 v58, v98, v108, v58 op_sel:[0,1,0]
	v_pk_fma_f16 v55, v98, v109, v55 op_sel:[0,1,0]
	v_pk_fma_f16 v4, v99, v108, v4 op_sel:[0,1,0]
	v_pk_fma_f16 v5, v99, v109, v5 op_sel_hi:[1,0,1]
	v_pk_fma_f16 v56, v100, v108, v56 op_sel:[0,1,0]
	v_pk_fma_f16 v57, v100, v109, v57 op_sel:[0,1,0]
	v_pk_fma_f16 v6, v101, v108, v6 op_sel:[0,1,0]
	v_pk_fma_f16 v7, v101, v109, v7 op_sel:[0,1,0]
	v_pk_fma_f16 v62, v92, v89, v62 op_sel_hi:[1,0,1]
	v_pk_fma_f16 v63, v93, v88, v63 op_sel_hi:[1,0,1]
	v_pk_fma_f16 v64, v93, v89, v64 op_sel_hi:[1,0,1]
	v_pk_fma_f16 v9, v74, v87, v9 op_sel:[0,1,0]
	v_pk_fma_f16 v10, v75, v86, v10 op_sel_hi:[1,0,1]
	v_pk_fma_f16 v11, v94, v106, v11 op_sel_hi:[1,0,1]
	v_pk_fma_f16 v59, v94, v107, v59 op_sel_hi:[1,0,1]
	v_pk_fma_f16 v61, v95, v106, v61 op_sel_hi:[1,0,1]
	;; [unrolled: 16-line block ×14, first 2 shown]
	v_pk_fma_f16 v65, v174, v182, v58 op_sel:[0,1,0]
	v_pk_fma_f16 v66, v174, v183, v55 op_sel:[0,1,0]
	v_pk_fma_f16 v67, v175, v182, v4 op_sel:[0,1,0]
	v_pk_fma_f16 v68, v175, v183, v5 op_sel_hi:[1,0,1]
	v_pk_fma_f16 v73, v176, v182, v56 op_sel:[0,1,0]
	v_pk_fma_f16 v74, v176, v183, v57 op_sel:[0,1,0]
	;; [unrolled: 1-line block ×4, first 2 shown]
	s_waitcnt vmcnt(3)
	ds_store_b128 v44, v[190:193]
	s_waitcnt vmcnt(2)
	ds_store_b128 v45, v[194:197]
	s_waitcnt vmcnt(1)
	ds_store_b128 v46, v[198:201]
	s_waitcnt vmcnt(0)
	ds_store_b128 v47, v[202:205]
	s_waitcnt lgkmcnt(0)
	s_barrier
	buffer_gl0_inv
	ds_load_2addr_b64 v[4:7], v60 offset1:32
	ds_load_b128 v[55:58], v42 offset:768
	v_pk_fma_f16 v62, v168, v179, v62 op_sel_hi:[1,0,1]
	v_pk_fma_f16 v63, v169, v178, v63 op_sel_hi:[1,0,1]
	;; [unrolled: 1-line block ×3, first 2 shown]
	v_pk_fma_f16 v9, v163, v161, v9 op_sel:[0,1,0]
	v_pk_fma_f16 v10, v164, v160, v10 op_sel_hi:[1,0,1]
	v_pk_fma_f16 v11, v170, v180, v11 op_sel_hi:[1,0,1]
	;; [unrolled: 1-line block ×7, first 2 shown]
	v_pk_fma_f16 v9, v167, v179, v9 op_sel:[0,1,0]
	v_pk_fma_f16 v10, v168, v178, v10 op_sel_hi:[1,0,1]
	v_pk_fma_f16 v11, v174, v182, v11 op_sel_hi:[1,0,1]
	;; [unrolled: 1-line block ×7, first 2 shown]
	v_pk_fma_f16 v9, v171, v181, v9 op_sel:[0,1,0]
	v_pk_fma_f16 v10, v172, v180, v10 op_sel_hi:[1,0,1]
	v_pk_fma_f16 v11, v186, v184, v11 op_sel_hi:[1,0,1]
	v_pk_fma_f16 v86, v186, v184, v65 op_sel:[0,1,0]
	v_pk_fma_f16 v59, v186, v185, v59 op_sel_hi:[1,0,1]
	v_pk_fma_f16 v87, v186, v185, v66 op_sel:[0,1,0]
	;; [unrolled: 2-line block ×7, first 2 shown]
	ds_load_b128 v[61:64], v42 offset:784
	ds_load_2addr_b64 v[65:68], v60 offset0:64 offset1:96
	ds_load_b128 v[73:76], v42 offset:800
	ds_load_b128 v[77:80], v42 offset:816
	v_pk_fma_f16 v9, v175, v183, v9 op_sel:[0,1,0]
	v_pk_fma_f16 v10, v176, v182, v10 op_sel_hi:[1,0,1]
	s_waitcnt lgkmcnt(4)
	v_pk_fma_f16 v11, v4, v55, v11 op_sel_hi:[1,0,1]
	v_pk_fma_f16 v98, v4, v55, v86 op_sel:[0,1,0]
	v_pk_fma_f16 v59, v4, v56, v59 op_sel_hi:[1,0,1]
	v_pk_fma_f16 v4, v4, v56, v87 op_sel:[0,1,0]
	;; [unrolled: 2-line block ×3, first 2 shown]
	ds_load_2addr_b64 v[86:89], v60 offset0:128 offset1:160
	v_pk_fma_f16 v9, v187, v185, v9 op_sel:[0,1,0]
	v_pk_fma_f16 v10, v188, v184, v10 op_sel_hi:[1,0,1]
	v_pk_fma_f16 v90, v5, v56, v90 op_sel_hi:[1,0,1]
	s_delay_alu instid0(VALU_DEP_3) | instskip(NEXT) | instid1(VALU_DEP_3)
	v_pk_fma_f16 v5, v5, v56, v9 op_sel:[0,1,0]
	v_pk_fma_f16 v9, v6, v55, v10 op_sel_hi:[1,0,1]
	v_pk_fma_f16 v10, v6, v55, v91 op_sel:[0,1,0]
	v_pk_fma_f16 v91, v6, v56, v92 op_sel_hi:[1,0,1]
	;; [unrolled: 2-line block ×4, first 2 shown]
	v_pk_fma_f16 v56, v7, v56, v97 op_sel:[0,1,0]
	s_waitcnt lgkmcnt(3)
	v_pk_fma_f16 v11, v65, v57, v11 op_sel_hi:[1,0,1]
	v_pk_fma_f16 v94, v65, v57, v98 op_sel:[0,1,0]
	v_pk_fma_f16 v59, v65, v58, v59 op_sel_hi:[1,0,1]
	v_pk_fma_f16 v65, v65, v58, v4 op_sel:[0,1,0]
	;; [unrolled: 2-line block ×7, first 2 shown]
	ds_load_2addr_b64 v[4:7], v60 offset0:192 offset1:224
	v_pk_fma_f16 v60, v68, v58, v93 op_sel_hi:[1,0,1]
	v_pk_fma_f16 v68, v68, v58, v56 op_sel:[0,1,0]
	s_waitcnt lgkmcnt(1)
	v_pk_fma_f16 v11, v86, v61, v11 op_sel_hi:[1,0,1]
	v_pk_fma_f16 v93, v86, v61, v94 op_sel:[0,1,0]
	v_pk_fma_f16 v59, v86, v62, v59 op_sel_hi:[1,0,1]
	v_pk_fma_f16 v65, v86, v62, v65 op_sel:[0,1,0]
	v_pk_fma_f16 v86, v87, v61, v95 op_sel_hi:[1,0,1]
	v_pk_fma_f16 v94, v87, v61, v96 op_sel:[0,1,0]
	v_pk_fma_f16 v90, v87, v62, v90 op_sel_hi:[1,0,1]
	v_pk_fma_f16 v66, v87, v62, v66 op_sel:[0,1,0]
	v_pk_fma_f16 v9, v88, v61, v9 op_sel_hi:[1,0,1]
	v_pk_fma_f16 v10, v88, v61, v10 op_sel:[0,1,0]
	v_pk_fma_f16 v87, v88, v62, v91 op_sel_hi:[1,0,1]
	v_pk_fma_f16 v67, v88, v62, v67 op_sel:[0,1,0]
	v_pk_fma_f16 v88, v89, v61, v92 op_sel_hi:[1,0,1]
	v_pk_fma_f16 v61, v89, v61, v55 op_sel:[0,1,0]
	ds_load_2addr_b64 v[55:58], v53 offset1:32
	v_pk_fma_f16 v91, v89, v62, v60 op_sel_hi:[1,0,1]
	v_pk_fma_f16 v68, v89, v62, v68 op_sel:[0,1,0]
	s_waitcnt lgkmcnt(1)
	v_pk_fma_f16 v11, v4, v63, v11 op_sel_hi:[1,0,1]
	v_pk_fma_f16 v89, v4, v63, v93 op_sel:[0,1,0]
	v_pk_fma_f16 v92, v4, v64, v59 op_sel_hi:[1,0,1]
	v_pk_fma_f16 v4, v4, v64, v65 op_sel:[0,1,0]
	;; [unrolled: 2-line block ×7, first 2 shown]
	ds_load_2addr_b64 v[59:62], v53 offset0:64 offset1:96
	v_pk_fma_f16 v87, v7, v64, v91 op_sel_hi:[1,0,1]
	v_pk_fma_f16 v64, v7, v64, v68 op_sel:[0,1,0]
	s_waitcnt lgkmcnt(1)
	v_pk_fma_f16 v11, v55, v73, v11 op_sel_hi:[1,0,1]
	v_pk_fma_f16 v68, v55, v73, v89 op_sel:[0,1,0]
	v_pk_fma_f16 v88, v55, v74, v92 op_sel_hi:[1,0,1]
	v_pk_fma_f16 v55, v55, v74, v4 op_sel:[0,1,0]
	;; [unrolled: 2-line block ×6, first 2 shown]
	ds_load_2addr_b64 v[4:7], v53 offset0:128 offset1:160
	v_pk_fma_f16 v67, v58, v73, v67 op_sel_hi:[1,0,1]
	v_pk_fma_f16 v63, v58, v73, v63 op_sel:[0,1,0]
	v_pk_fma_f16 v73, v58, v74, v87 op_sel_hi:[1,0,1]
	v_pk_fma_f16 v64, v58, v74, v64 op_sel:[0,1,0]
	s_waitcnt lgkmcnt(1)
	v_pk_fma_f16 v11, v59, v75, v11 op_sel_hi:[1,0,1]
	v_pk_fma_f16 v68, v59, v75, v68 op_sel:[0,1,0]
	v_pk_fma_f16 v74, v59, v76, v88 op_sel_hi:[1,0,1]
	v_pk_fma_f16 v59, v59, v76, v55 op_sel:[0,1,0]
	;; [unrolled: 2-line block ×7, first 2 shown]
	ds_load_2addr_b64 v[55:58], v53 offset0:192 offset1:224
	v_pk_fma_f16 v73, v62, v76, v73 op_sel_hi:[1,0,1]
	v_pk_fma_f16 v53, v62, v76, v64 op_sel:[0,1,0]
	s_waitcnt lgkmcnt(1)
	v_pk_fma_f16 v11, v4, v77, v11 op_sel_hi:[1,0,1]
	v_pk_fma_f16 v68, v4, v77, v68 op_sel:[0,1,0]
	v_pk_fma_f16 v74, v4, v78, v74 op_sel_hi:[1,0,1]
	v_pk_fma_f16 v4, v4, v78, v59 op_sel:[0,1,0]
	;; [unrolled: 2-line block ×7, first 2 shown]
	ds_load_2addr_b64 v[59:62], v52 offset1:32
	ds_load_b128 v[63:66], v42 offset:832
	v_pk_fma_f16 v73, v7, v78, v73 op_sel_hi:[1,0,1]
	v_pk_fma_f16 v53, v7, v78, v53 op_sel:[0,1,0]
	s_waitcnt lgkmcnt(2)
	v_pk_fma_f16 v11, v55, v79, v11 op_sel_hi:[1,0,1]
	v_pk_fma_f16 v68, v55, v79, v68 op_sel:[0,1,0]
	v_pk_fma_f16 v74, v55, v80, v74 op_sel_hi:[1,0,1]
	v_pk_fma_f16 v78, v55, v80, v4 op_sel:[0,1,0]
	;; [unrolled: 2-line block ×3, first 2 shown]
	v_pk_fma_f16 v88, v56, v80, v5 op_sel:[0,1,0]
	v_pk_fma_f16 v89, v57, v80, v6 op_sel:[0,1,0]
	ds_load_2addr_b64 v[4:7], v52 offset0:64 offset1:96
	v_pk_fma_f16 v86, v56, v80, v86 op_sel_hi:[1,0,1]
	v_pk_fma_f16 v9, v57, v79, v9 op_sel_hi:[1,0,1]
	v_pk_fma_f16 v10, v57, v79, v10 op_sel:[0,1,0]
	v_pk_fma_f16 v87, v57, v80, v87 op_sel_hi:[1,0,1]
	v_pk_fma_f16 v67, v58, v79, v67 op_sel_hi:[1,0,1]
	v_pk_fma_f16 v77, v58, v79, v77 op_sel:[0,1,0]
	v_pk_fma_f16 v79, v58, v80, v73 op_sel_hi:[1,0,1]
	v_pk_fma_f16 v53, v58, v80, v53 op_sel:[0,1,0]
	ds_load_b128 v[55:58], v42 offset:848
	s_waitcnt lgkmcnt(2)
	v_pk_fma_f16 v11, v59, v63, v11 op_sel_hi:[1,0,1]
	v_pk_fma_f16 v68, v59, v63, v68 op_sel:[0,1,0]
	v_pk_fma_f16 v80, v59, v64, v74 op_sel_hi:[1,0,1]
	v_pk_fma_f16 v59, v59, v64, v78 op_sel:[0,1,0]
	v_pk_fma_f16 v78, v60, v63, v75 op_sel_hi:[1,0,1]
	v_pk_fma_f16 v90, v60, v63, v76 op_sel:[0,1,0]
	ds_load_2addr_b64 v[73:76], v52 offset0:128 offset1:160
	v_pk_fma_f16 v86, v60, v64, v86 op_sel_hi:[1,0,1]
	v_pk_fma_f16 v60, v60, v64, v88 op_sel:[0,1,0]
	v_pk_fma_f16 v9, v61, v63, v9 op_sel_hi:[1,0,1]
	v_pk_fma_f16 v10, v61, v63, v10 op_sel:[0,1,0]
	;; [unrolled: 2-line block ×5, first 2 shown]
	s_waitcnt lgkmcnt(2)
	v_pk_fma_f16 v11, v4, v65, v11 op_sel_hi:[1,0,1]
	v_pk_fma_f16 v64, v4, v65, v68 op_sel:[0,1,0]
	v_pk_fma_f16 v68, v4, v66, v80 op_sel_hi:[1,0,1]
	v_pk_fma_f16 v4, v4, v66, v59 op_sel:[0,1,0]
	;; [unrolled: 2-line block ×7, first 2 shown]
	v_pk_fma_f16 v65, v7, v66, v77 op_sel_hi:[1,0,1]
	ds_load_2addr_b64 v[59:62], v52 offset0:192 offset1:224
	v_pk_fma_f16 v52, v7, v66, v53 op_sel:[0,1,0]
	s_waitcnt lgkmcnt(1)
	v_pk_fma_f16 v11, v73, v55, v11 op_sel_hi:[1,0,1]
	v_pk_fma_f16 v53, v73, v55, v64 op_sel:[0,1,0]
	v_pk_fma_f16 v68, v73, v56, v68 op_sel_hi:[1,0,1]
	v_pk_fma_f16 v73, v73, v56, v4 op_sel:[0,1,0]
	;; [unrolled: 2-line block ×7, first 2 shown]
	v_pk_fma_f16 v86, v76, v56, v65 op_sel_hi:[1,0,1]
	ds_load_2addr_b64 v[4:7], v54 offset1:32
	ds_load_b128 v[63:66], v42 offset:864
	v_pk_fma_f16 v52, v76, v56, v52 op_sel:[0,1,0]
	s_waitcnt lgkmcnt(2)
	v_pk_fma_f16 v11, v59, v57, v11 op_sel_hi:[1,0,1]
	v_pk_fma_f16 v53, v59, v57, v53 op_sel:[0,1,0]
	v_pk_fma_f16 v68, v59, v58, v68 op_sel_hi:[1,0,1]
	v_pk_fma_f16 v59, v59, v58, v73 op_sel:[0,1,0]
	;; [unrolled: 2-line block ×6, first 2 shown]
	ds_load_2addr_b64 v[73:76], v54 offset0:64 offset1:96
	v_pk_fma_f16 v67, v62, v57, v67 op_sel_hi:[1,0,1]
	v_pk_fma_f16 v87, v62, v57, v55 op_sel:[0,1,0]
	v_pk_fma_f16 v86, v62, v58, v86 op_sel_hi:[1,0,1]
	v_pk_fma_f16 v52, v62, v58, v52 op_sel:[0,1,0]
	ds_load_b128 v[55:58], v42 offset:880
	s_waitcnt lgkmcnt(2)
	v_pk_fma_f16 v11, v4, v63, v11 op_sel_hi:[1,0,1]
	v_pk_fma_f16 v53, v4, v63, v53 op_sel:[0,1,0]
	v_pk_fma_f16 v68, v4, v64, v68 op_sel_hi:[1,0,1]
	v_pk_fma_f16 v4, v4, v64, v59 op_sel:[0,1,0]
	;; [unrolled: 2-line block ×6, first 2 shown]
	ds_load_2addr_b64 v[59:62], v54 offset0:128 offset1:160
	v_pk_fma_f16 v67, v7, v63, v67 op_sel_hi:[1,0,1]
	v_pk_fma_f16 v63, v7, v63, v87 op_sel:[0,1,0]
	v_pk_fma_f16 v86, v7, v64, v86 op_sel_hi:[1,0,1]
	v_pk_fma_f16 v52, v7, v64, v52 op_sel:[0,1,0]
	s_waitcnt lgkmcnt(2)
	v_pk_fma_f16 v11, v73, v65, v11 op_sel_hi:[1,0,1]
	v_pk_fma_f16 v53, v73, v65, v53 op_sel:[0,1,0]
	v_pk_fma_f16 v64, v73, v66, v68 op_sel_hi:[1,0,1]
	v_pk_fma_f16 v68, v73, v66, v4 op_sel:[0,1,0]
	;; [unrolled: 2-line block ×7, first 2 shown]
	v_pk_fma_f16 v65, v76, v66, v86 op_sel_hi:[1,0,1]
	ds_load_2addr_b64 v[4:7], v54 offset0:192 offset1:224
	v_pk_fma_f16 v76, v76, v66, v52 op_sel:[0,1,0]
	s_waitcnt lgkmcnt(1)
	v_pk_fma_f16 v11, v59, v55, v11 op_sel_hi:[1,0,1]
	v_pk_fma_f16 v80, v59, v55, v53 op_sel:[0,1,0]
	v_pk_fma_f16 v86, v59, v56, v64 op_sel_hi:[1,0,1]
	v_pk_fma_f16 v59, v59, v56, v68 op_sel:[0,1,0]
	;; [unrolled: 2-line block ×7, first 2 shown]
	v_pk_fma_f16 v78, v62, v56, v65 op_sel_hi:[1,0,1]
	ds_load_2addr_b64 v[52:55], v51 offset1:32
	ds_load_b128 v[63:66], v42 offset:896
	v_pk_fma_f16 v56, v62, v56, v76 op_sel:[0,1,0]
	s_waitcnt lgkmcnt(2)
	v_pk_fma_f16 v11, v4, v57, v11 op_sel_hi:[1,0,1]
	v_pk_fma_f16 v76, v4, v57, v80 op_sel:[0,1,0]
	v_pk_fma_f16 v79, v4, v58, v86 op_sel_hi:[1,0,1]
	v_pk_fma_f16 v80, v4, v58, v59 op_sel:[0,1,0]
	;; [unrolled: 2-line block ×5, first 2 shown]
	ds_load_2addr_b64 v[59:62], v51 offset0:64 offset1:96
	v_pk_fma_f16 v9, v6, v57, v9 op_sel_hi:[1,0,1]
	v_pk_fma_f16 v10, v6, v57, v10 op_sel:[0,1,0]
	v_pk_fma_f16 v67, v7, v57, v67 op_sel_hi:[1,0,1]
	v_pk_fma_f16 v57, v7, v57, v75 op_sel:[0,1,0]
	;; [unrolled: 2-line block ×3, first 2 shown]
	ds_load_b128 v[4:7], v42 offset:912
	s_waitcnt lgkmcnt(2)
	v_pk_fma_f16 v11, v52, v63, v11 op_sel_hi:[1,0,1]
	v_pk_fma_f16 v58, v52, v63, v76 op_sel:[0,1,0]
	v_pk_fma_f16 v79, v52, v64, v79 op_sel_hi:[1,0,1]
	v_pk_fma_f16 v52, v52, v64, v80 op_sel:[0,1,0]
	;; [unrolled: 2-line block ×4, first 2 shown]
	v_pk_fma_f16 v86, v54, v64, v74 op_sel_hi:[1,0,1]
	ds_load_2addr_b64 v[73:76], v51 offset0:128 offset1:160
	v_pk_fma_f16 v9, v54, v63, v9 op_sel_hi:[1,0,1]
	v_pk_fma_f16 v10, v54, v63, v10 op_sel:[0,1,0]
	v_pk_fma_f16 v54, v54, v64, v87 op_sel:[0,1,0]
	v_pk_fma_f16 v67, v55, v63, v67 op_sel_hi:[1,0,1]
	v_pk_fma_f16 v57, v55, v63, v57 op_sel:[0,1,0]
	v_pk_fma_f16 v63, v55, v64, v78 op_sel_hi:[1,0,1]
	v_pk_fma_f16 v55, v55, v64, v56 op_sel:[0,1,0]
	s_waitcnt lgkmcnt(2)
	v_pk_fma_f16 v11, v59, v65, v11 op_sel_hi:[1,0,1]
	v_pk_fma_f16 v56, v59, v65, v58 op_sel:[0,1,0]
	v_pk_fma_f16 v58, v59, v66, v79 op_sel_hi:[1,0,1]
	v_pk_fma_f16 v59, v59, v66, v52 op_sel:[0,1,0]
	;; [unrolled: 2-line block ×7, first 2 shown]
	ds_load_2addr_b64 v[51:54], v51 offset0:192 offset1:224
	v_pk_fma_f16 v63, v62, v66, v63 op_sel_hi:[1,0,1]
	v_pk_fma_f16 v65, v62, v66, v55 op_sel:[0,1,0]
	s_waitcnt lgkmcnt(1)
	v_pk_fma_f16 v11, v73, v4, v11 op_sel_hi:[1,0,1]
	v_pk_fma_f16 v66, v73, v4, v56 op_sel:[0,1,0]
	v_pk_fma_f16 v79, v73, v5, v58 op_sel_hi:[1,0,1]
	v_pk_fma_f16 v73, v73, v5, v59 op_sel:[0,1,0]
	;; [unrolled: 2-line block ×7, first 2 shown]
	ds_load_2addr_b64 v[55:58], v50 offset1:32
	ds_load_b128 v[59:62], v42 offset:928
	v_pk_fma_f16 v63, v76, v5, v63 op_sel_hi:[1,0,1]
	v_pk_fma_f16 v5, v76, v5, v65 op_sel:[0,1,0]
	s_waitcnt lgkmcnt(2)
	v_pk_fma_f16 v11, v51, v6, v11 op_sel_hi:[1,0,1]
	v_pk_fma_f16 v76, v51, v6, v66 op_sel:[0,1,0]
	v_pk_fma_f16 v79, v51, v7, v79 op_sel_hi:[1,0,1]
	v_pk_fma_f16 v51, v51, v7, v73 op_sel:[0,1,0]
	;; [unrolled: 2-line block ×6, first 2 shown]
	v_pk_fma_f16 v78, v54, v7, v63 op_sel_hi:[1,0,1]
	ds_load_2addr_b64 v[63:66], v50 offset0:64 offset1:96
	v_pk_fma_f16 v67, v54, v6, v67 op_sel_hi:[1,0,1]
	v_pk_fma_f16 v75, v54, v6, v4 op_sel:[0,1,0]
	v_pk_fma_f16 v80, v54, v7, v5 op_sel:[0,1,0]
	ds_load_b128 v[4:7], v42 offset:944
	s_waitcnt lgkmcnt(2)
	v_pk_fma_f16 v11, v55, v59, v11 op_sel_hi:[1,0,1]
	v_pk_fma_f16 v76, v55, v59, v76 op_sel:[0,1,0]
	v_pk_fma_f16 v79, v55, v60, v79 op_sel_hi:[1,0,1]
	v_pk_fma_f16 v55, v55, v60, v51 op_sel:[0,1,0]
	;; [unrolled: 2-line block ×6, first 2 shown]
	ds_load_2addr_b64 v[51:54], v50 offset0:128 offset1:160
	v_pk_fma_f16 v67, v58, v59, v67 op_sel_hi:[1,0,1]
	v_pk_fma_f16 v59, v58, v59, v75 op_sel:[0,1,0]
	v_pk_fma_f16 v75, v58, v60, v78 op_sel_hi:[1,0,1]
	v_pk_fma_f16 v60, v58, v60, v80 op_sel:[0,1,0]
	s_waitcnt lgkmcnt(2)
	v_pk_fma_f16 v11, v63, v61, v11 op_sel_hi:[1,0,1]
	v_pk_fma_f16 v76, v63, v61, v76 op_sel:[0,1,0]
	v_pk_fma_f16 v78, v63, v62, v79 op_sel_hi:[1,0,1]
	v_pk_fma_f16 v63, v63, v62, v55 op_sel:[0,1,0]
	v_pk_fma_f16 v73, v64, v61, v73 op_sel_hi:[1,0,1]
	v_pk_fma_f16 v68, v64, v61, v68 op_sel:[0,1,0]
	v_pk_fma_f16 v77, v64, v62, v77 op_sel_hi:[1,0,1]
	v_pk_fma_f16 v64, v64, v62, v56 op_sel:[0,1,0]
	v_pk_fma_f16 v9, v65, v61, v9 op_sel_hi:[1,0,1]
	v_pk_fma_f16 v10, v65, v61, v10 op_sel:[0,1,0]
	v_pk_fma_f16 v74, v65, v62, v74 op_sel_hi:[1,0,1]
	v_pk_fma_f16 v65, v65, v62, v57 op_sel:[0,1,0]
	v_pk_fma_f16 v67, v66, v61, v67 op_sel_hi:[1,0,1]
	v_pk_fma_f16 v59, v66, v61, v59 op_sel:[0,1,0]
	v_pk_fma_f16 v61, v66, v62, v75 op_sel_hi:[1,0,1]
	ds_load_2addr_b64 v[55:58], v50 offset0:192 offset1:224
	v_pk_fma_f16 v66, v66, v62, v60 op_sel:[0,1,0]
	s_waitcnt lgkmcnt(1)
	v_pk_fma_f16 v11, v51, v4, v11 op_sel_hi:[1,0,1]
	v_pk_fma_f16 v75, v51, v4, v76 op_sel:[0,1,0]
	v_pk_fma_f16 v76, v51, v5, v78 op_sel_hi:[1,0,1]
	v_pk_fma_f16 v63, v51, v5, v63 op_sel:[0,1,0]
	;; [unrolled: 2-line block ×7, first 2 shown]
	v_pk_fma_f16 v78, v54, v5, v61 op_sel_hi:[1,0,1]
	ds_load_2addr_b64 v[50:53], v49 offset1:32
	ds_load_b128 v[59:62], v42 offset:960
	v_pk_fma_f16 v5, v54, v5, v66 op_sel:[0,1,0]
	s_waitcnt lgkmcnt(2)
	v_pk_fma_f16 v11, v55, v6, v11 op_sel_hi:[1,0,1]
	v_pk_fma_f16 v66, v55, v6, v75 op_sel:[0,1,0]
	v_pk_fma_f16 v75, v55, v7, v76 op_sel_hi:[1,0,1]
	v_pk_fma_f16 v63, v55, v7, v63 op_sel:[0,1,0]
	;; [unrolled: 2-line block ×6, first 2 shown]
	ds_load_2addr_b64 v[54:57], v49 offset0:64 offset1:96
	v_pk_fma_f16 v67, v58, v6, v67 op_sel_hi:[1,0,1]
	v_pk_fma_f16 v77, v58, v6, v4 op_sel:[0,1,0]
	v_pk_fma_f16 v78, v58, v7, v78 op_sel_hi:[1,0,1]
	v_pk_fma_f16 v58, v58, v7, v5 op_sel:[0,1,0]
	ds_load_b128 v[4:7], v42 offset:976
	s_waitcnt lgkmcnt(2)
	v_pk_fma_f16 v11, v50, v59, v11 op_sel_hi:[1,0,1]
	v_pk_fma_f16 v79, v50, v59, v66 op_sel:[0,1,0]
	v_pk_fma_f16 v75, v50, v60, v75 op_sel_hi:[1,0,1]
	v_pk_fma_f16 v50, v50, v60, v63 op_sel:[0,1,0]
	;; [unrolled: 2-line block ×6, first 2 shown]
	ds_load_2addr_b64 v[63:66], v49 offset0:128 offset1:160
	v_pk_fma_f16 v67, v53, v59, v67 op_sel_hi:[1,0,1]
	v_pk_fma_f16 v59, v53, v59, v77 op_sel:[0,1,0]
	v_pk_fma_f16 v77, v53, v60, v78 op_sel_hi:[1,0,1]
	v_pk_fma_f16 v53, v53, v60, v58 op_sel:[0,1,0]
	s_waitcnt lgkmcnt(2)
	v_pk_fma_f16 v11, v54, v61, v11 op_sel_hi:[1,0,1]
	v_pk_fma_f16 v58, v54, v61, v79 op_sel:[0,1,0]
	v_pk_fma_f16 v60, v54, v62, v75 op_sel_hi:[1,0,1]
	v_pk_fma_f16 v54, v54, v62, v50 op_sel:[0,1,0]
	;; [unrolled: 2-line block ×7, first 2 shown]
	ds_load_2addr_b64 v[49:52], v49 offset0:192 offset1:224
	v_pk_fma_f16 v61, v57, v62, v77 op_sel_hi:[1,0,1]
	v_pk_fma_f16 v62, v57, v62, v53 op_sel:[0,1,0]
	s_waitcnt lgkmcnt(1)
	v_pk_fma_f16 v11, v63, v4, v11 op_sel_hi:[1,0,1]
	v_pk_fma_f16 v76, v63, v4, v58 op_sel:[0,1,0]
	v_pk_fma_f16 v77, v63, v5, v60 op_sel_hi:[1,0,1]
	v_pk_fma_f16 v63, v63, v5, v54 op_sel:[0,1,0]
	;; [unrolled: 2-line block ×7, first 2 shown]
	ds_load_2addr_b64 v[53:56], v8 offset1:32
	ds_load_b128 v[57:60], v42 offset:992
	v_pk_fma_f16 v61, v66, v5, v61 op_sel_hi:[1,0,1]
	v_pk_fma_f16 v5, v66, v5, v62 op_sel:[0,1,0]
	s_waitcnt lgkmcnt(2)
	v_pk_fma_f16 v11, v49, v6, v11 op_sel_hi:[1,0,1]
	v_pk_fma_f16 v66, v49, v6, v76 op_sel:[0,1,0]
	v_pk_fma_f16 v76, v49, v7, v77 op_sel_hi:[1,0,1]
	v_pk_fma_f16 v49, v49, v7, v63 op_sel:[0,1,0]
	;; [unrolled: 2-line block ×6, first 2 shown]
	v_pk_fma_f16 v77, v52, v7, v61 op_sel_hi:[1,0,1]
	ds_load_2addr_b64 v[61:64], v8 offset0:64 offset1:96
	v_pk_fma_f16 v65, v52, v6, v67 op_sel_hi:[1,0,1]
	v_pk_fma_f16 v67, v52, v6, v4 op_sel:[0,1,0]
	v_pk_fma_f16 v78, v52, v7, v5 op_sel:[0,1,0]
	ds_load_b128 v[4:7], v42 offset:1008
	s_waitcnt lgkmcnt(2)
	v_pk_fma_f16 v11, v53, v57, v11 op_sel_hi:[1,0,1]
	v_pk_fma_f16 v66, v53, v57, v66 op_sel:[0,1,0]
	v_pk_fma_f16 v76, v53, v58, v76 op_sel_hi:[1,0,1]
	v_pk_fma_f16 v53, v53, v58, v49 op_sel:[0,1,0]
	;; [unrolled: 2-line block ×6, first 2 shown]
	ds_load_2addr_b64 v[49:52], v8 offset0:128 offset1:160
	v_pk_fma_f16 v65, v56, v57, v65 op_sel_hi:[1,0,1]
	v_pk_fma_f16 v57, v56, v57, v67 op_sel:[0,1,0]
	v_pk_fma_f16 v67, v56, v58, v77 op_sel_hi:[1,0,1]
	v_pk_fma_f16 v56, v56, v58, v78 op_sel:[0,1,0]
	s_waitcnt lgkmcnt(2)
	v_pk_fma_f16 v11, v61, v59, v11 op_sel_hi:[1,0,1]
	v_pk_fma_f16 v58, v61, v59, v66 op_sel:[0,1,0]
	v_pk_fma_f16 v66, v61, v60, v76 op_sel_hi:[1,0,1]
	v_pk_fma_f16 v53, v61, v60, v53 op_sel:[0,1,0]
	;; [unrolled: 2-line block ×8, first 2 shown]
	s_waitcnt lgkmcnt(0)
	v_pk_fma_f16 v60, v49, v4, v11 op_sel_hi:[1,0,1]
	ds_load_2addr_b64 v[8:11], v8 offset0:192 offset1:224
	s_waitcnt lgkmcnt(0)
	s_barrier
	buffer_gl0_inv
	s_load_b32 s18, s[2:3], 0x4
	v_pk_fma_f16 v58, v49, v4, v58 op_sel:[0,1,0]
	v_pk_fma_f16 v64, v49, v5, v66 op_sel_hi:[1,0,1]
	v_pk_fma_f16 v49, v49, v5, v53 op_sel:[0,1,0]
	v_pk_fma_f16 v61, v50, v4, v61 op_sel_hi:[1,0,1]
	;; [unrolled: 2-line block ×9, first 2 shown]
	v_pk_fma_f16 v51, v8, v7, v49 op_sel:[0,1,0]
	s_waitcnt lgkmcnt(0)
	s_lshl_b32 s18, s18, 7
	v_pk_fma_f16 v64, v9, v6, v61 op_sel_hi:[1,0,1]
	v_pk_fma_f16 v61, v9, v6, v65 op_sel:[0,1,0]
	v_pk_fma_f16 v56, v9, v7, v66 op_sel_hi:[1,0,1]
	v_pk_fma_f16 v52, v9, v7, v50 op_sel:[0,1,0]
	;; [unrolled: 2-line block ×6, first 2 shown]
	s_add_i32 s4, s18, s4
	s_delay_alu instid0(SALU_CYCLE_1)
	s_cmp_ge_i32 s4, s34
	s_cbranch_scc1 .LBB5_83
; %bb.82:                               ;   in Loop: Header=BB5_17 Depth=1
	v_dual_mov_b32 v68, v0 :: v_dual_mov_b32 v11, v2
	v_dual_mov_b32 v66, v1 :: v_dual_mov_b32 v65, v70
	;; [unrolled: 1-line block ×4, first 2 shown]
	s_branch .LBB5_17
.LBB5_83:
	v_mov_b32_e32 v7, v33
.LBB5_84:
	v_cmp_lt_i32_e32 vcc_lo, v85, v34
	s_cmp_lg_u64 s[24:25], 0
	s_cselect_b32 s2, -1, 0
	s_cmp_eq_u32 s14, 0
	v_cndmask_b32_e32 v4, v7, v85, vcc_lo
	v_cmp_lt_i32_e32 vcc_lo, v84, v34
	s_cselect_b32 s3, -1, 0
	s_delay_alu instid0(SALU_CYCLE_1) | instskip(SKIP_4) | instid1(VALU_DEP_2)
	s_and_b32 s2, s3, s2
	v_cndmask_b32_e32 v9, v7, v84, vcc_lo
	v_cmp_lt_i32_e32 vcc_lo, v83, v34
	v_cndmask_b32_e32 v15, v7, v83, vcc_lo
	v_cmp_lt_i32_e32 vcc_lo, v82, v34
	v_lshlrev_b32_e32 v15, 2, v15
	v_lshlrev_b32_e32 v4, 2, v4
	ds_bpermute_b32 v5, v4, v69
	s_waitcnt lgkmcnt(0)
	v_add_f32_e32 v5, v69, v5
	ds_bpermute_b32 v6, v4, v70
	ds_bpermute_b32 v8, v4, v72
	;; [unrolled: 1-line block ×3, first 2 shown]
	s_waitcnt lgkmcnt(2)
	v_dual_add_f32 v6, v70, v6 :: v_dual_lshlrev_b32 v9, 2, v9
	s_waitcnt lgkmcnt(1)
	v_add_f32_e32 v8, v72, v8
	ds_bpermute_b32 v10, v9, v5
	s_waitcnt lgkmcnt(1)
	v_add_f32_e32 v4, v71, v4
	ds_bpermute_b32 v11, v9, v6
	ds_bpermute_b32 v14, v9, v8
	s_waitcnt lgkmcnt(2)
	v_add_f32_e32 v5, v5, v10
	ds_bpermute_b32 v9, v9, v4
	s_waitcnt lgkmcnt(2)
	v_add_f32_e32 v6, v6, v11
	s_waitcnt lgkmcnt(1)
	v_add_f32_e32 v8, v8, v14
	ds_bpermute_b32 v10, v15, v6
	ds_bpermute_b32 v11, v15, v8
	s_waitcnt lgkmcnt(2)
	v_add_f32_e32 v4, v4, v9
	ds_bpermute_b32 v9, v15, v5
	ds_bpermute_b32 v14, v15, v4
	v_cndmask_b32_e32 v15, v7, v82, vcc_lo
	v_cmp_lt_i32_e32 vcc_lo, v81, v34
	s_waitcnt lgkmcnt(2)
	v_add_f32_e32 v8, v8, v11
	s_delay_alu instid0(VALU_DEP_3)
	v_dual_add_f32 v6, v6, v10 :: v_dual_lshlrev_b32 v15, 2, v15
	v_cndmask_b32_e32 v7, v7, v81, vcc_lo
	s_and_b32 vcc_lo, exec_lo, s2
	s_mov_b32 s2, 0
	ds_bpermute_b32 v11, v15, v8
	ds_bpermute_b32 v10, v15, v6
	v_lshlrev_b32_e32 v7, 2, v7
	s_waitcnt lgkmcnt(2)
	v_dual_add_f32 v5, v5, v9 :: v_dual_add_f32 v4, v4, v14
	ds_bpermute_b32 v9, v15, v5
	ds_bpermute_b32 v14, v15, v4
	s_waitcnt lgkmcnt(2)
	v_add_f32_e32 v6, v6, v10
	ds_bpermute_b32 v10, v7, v6
	s_waitcnt lgkmcnt(2)
	v_dual_add_f32 v8, v8, v11 :: v_dual_add_f32 v5, v5, v9
	s_waitcnt lgkmcnt(1)
	v_add_f32_e32 v9, v4, v14
	ds_bpermute_b32 v4, v7, v5
	v_add_nc_u32_e32 v14, s15, v32
	s_waitcnt lgkmcnt(0)
	v_dual_add_f32 v4, v5, v4 :: v_dual_add_f32 v5, v6, v10
	ds_bpermute_b32 v11, v7, v8
	ds_bpermute_b32 v7, v7, v9
	s_waitcnt lgkmcnt(1)
	v_add_f32_e32 v6, v8, v11
	s_waitcnt lgkmcnt(0)
	v_add_f32_e32 v7, v9, v7
	s_cbranch_vccnz .LBB5_86
; %bb.85:
	s_delay_alu instid0(VALU_DEP_1)
	v_dual_mov_b32 v11, v7 :: v_dual_mov_b32 v8, v4
	v_dual_mov_b32 v10, v6 :: v_dual_add_nc_u32 v15, s15, v32
	v_mov_b32_e32 v9, v5
	s_and_not1_b32 vcc_lo, exec_lo, s2
	s_cbranch_vccz .LBB5_87
	s_branch .LBB5_88
.LBB5_86:
                                        ; implicit-def: $vgpr15
                                        ; implicit-def: $vgpr8_vgpr9_vgpr10_vgpr11
.LBB5_87:
	v_ashrrev_i32_e32 v15, 31, v14
	v_max_f32_e32 v18, v2, v2
	s_delay_alu instid0(VALU_DEP_2) | instskip(SKIP_1) | instid1(VALU_DEP_2)
	v_lshlrev_b64 v[8:9], 2, v[14:15]
	v_max_f32_e32 v15, v0, v0
	v_add_co_u32 v8, vcc_lo, s24, v8
	s_delay_alu instid0(VALU_DEP_3)
	v_add_co_ci_u32_e32 v9, vcc_lo, s25, v9, vcc_lo
	global_load_b128 v[8:11], v[8:9], off
	v_max_f32_e32 v17, v1, v1
	s_waitcnt vmcnt(0)
	v_dual_max_f32 v19, v3, v3 :: v_dual_max_f32 v20, v9, v9
	v_dual_max_f32 v16, v8, v8 :: v_dual_max_f32 v21, v10, v10
	s_delay_alu instid0(VALU_DEP_2) | instskip(NEXT) | instid1(VALU_DEP_2)
	v_dual_max_f32 v22, v11, v11 :: v_dual_max_f32 v17, v17, v20
	v_dual_max_f32 v16, v15, v16 :: v_dual_mov_b32 v15, v14
	s_delay_alu instid0(VALU_DEP_2) | instskip(NEXT) | instid1(VALU_DEP_2)
	v_dual_max_f32 v18, v18, v21 :: v_dual_max_f32 v19, v19, v22
	v_dual_sub_f32 v9, v9, v17 :: v_dual_sub_f32 v14, v0, v16
	v_sub_f32_e32 v8, v8, v16
	s_delay_alu instid0(VALU_DEP_3) | instskip(NEXT) | instid1(VALU_DEP_4)
	v_dual_sub_f32 v20, v1, v17 :: v_dual_sub_f32 v21, v2, v18
	v_sub_f32_e32 v22, v3, v19
	v_dual_mov_b32 v0, v16 :: v_dual_mov_b32 v3, v19
	v_dual_sub_f32 v10, v10, v18 :: v_dual_sub_f32 v11, v11, v19
	v_dual_mov_b32 v1, v17 :: v_dual_mov_b32 v2, v18
	v_dual_mul_f32 v17, 0x3fb8aa3b, v8 :: v_dual_mul_f32 v16, 0x3fb8aa3b, v14
	v_dual_mul_f32 v19, 0x3fb8aa3b, v9 :: v_dual_mul_f32 v18, 0x3fb8aa3b, v20
	v_mul_f32_e32 v23, 0x3fb8aa3b, v21
	v_dual_mul_f32 v25, 0x3fb8aa3b, v22 :: v_dual_mul_f32 v26, 0x3fb8aa3b, v11
	s_delay_alu instid0(VALU_DEP_3)
	v_rndne_f32_e32 v35, v19
	v_mul_f32_e32 v24, 0x3fb8aa3b, v10
	v_fma_f32 v34, 0x3fb8aa3b, v9, -v19
	v_fma_f32 v36, 0x3fb8aa3b, v21, -v23
	v_rndne_f32_e32 v37, v23
	v_sub_f32_e32 v19, v19, v35
	v_fma_f32 v38, 0x3fb8aa3b, v10, -v24
	v_fma_f32 v27, 0x3fb8aa3b, v14, -v16
	v_rndne_f32_e32 v28, v16
	v_fmac_f32_e32 v36, 0x32a5705f, v21
	s_delay_alu instid0(VALU_DEP_4) | instskip(SKIP_3) | instid1(VALU_DEP_4)
	v_dual_sub_f32 v23, v23, v37 :: v_dual_fmac_f32 v38, 0x32a5705f, v10
	v_fmac_f32_e32 v34, 0x32a5705f, v9
	v_fma_f32 v29, 0x3fb8aa3b, v8, -v17
	v_rndne_f32_e32 v30, v17
	v_add_f32_e32 v23, v23, v36
	v_dual_fmac_f32 v27, 0x32a5705f, v14 :: v_dual_sub_f32 v16, v16, v28
	v_add_f32_e32 v19, v19, v34
	v_fma_f32 v32, 0x3fb8aa3b, v20, -v18
	v_rndne_f32_e32 v33, v18
	v_fma_f32 v40, 0x3fb8aa3b, v22, -v25
	v_fmac_f32_e32 v29, 0x32a5705f, v8
	s_delay_alu instid0(VALU_DEP_4)
	v_dual_sub_f32 v17, v17, v30 :: v_dual_fmac_f32 v32, 0x32a5705f, v20
	v_add_f32_e32 v16, v16, v27
	v_exp_f32_e32 v19, v19
	v_sub_f32_e32 v18, v18, v33
	v_cvt_i32_f32_e32 v35, v35
	v_dual_fmac_f32 v40, 0x32a5705f, v22 :: v_dual_add_f32 v17, v17, v29
	v_exp_f32_e32 v16, v16
	v_cvt_i32_f32_e32 v28, v28
	v_cvt_i32_f32_e32 v30, v30
	v_cmp_ngt_f32_e32 vcc_lo, 0xc2ce8ed0, v14
	v_exp_f32_e32 v17, v17
	s_delay_alu instid0(TRANS32_DEP_3)
	v_ldexp_f32 v19, v19, v35
	v_add_f32_e32 v18, v18, v32
	v_rndne_f32_e32 v43, v26
	v_cvt_i32_f32_e32 v33, v33
	v_rndne_f32_e32 v39, v24
	v_ldexp_f32 v16, v16, v28
	v_exp_f32_e32 v18, v18
	v_fma_f32 v42, 0x3fb8aa3b, v11, -v26
	v_exp_f32_e32 v23, v23
	v_ldexp_f32 v17, v17, v30
	v_cndmask_b32_e32 v16, 0, v16, vcc_lo
	v_cmp_ngt_f32_e32 vcc_lo, 0xc2ce8ed0, v8
	v_sub_f32_e32 v26, v26, v43
	v_rndne_f32_e32 v41, v25
	v_cvt_i32_f32_e32 v37, v37
	v_sub_f32_e32 v24, v24, v39
	v_ldexp_f32 v18, v18, v33
	v_cndmask_b32_e32 v17, 0, v17, vcc_lo
	v_sub_f32_e32 v25, v25, v41
	v_cmp_ngt_f32_e32 vcc_lo, 0xc2ce8ed0, v20
	v_ldexp_f32 v23, v23, v37
	v_fmac_f32_e32 v42, 0x32a5705f, v11
	v_cvt_i32_f32_e32 v39, v39
	v_dual_add_f32 v25, v25, v40 :: v_dual_cndmask_b32 v18, 0, v18
	v_cmp_ngt_f32_e32 vcc_lo, 0xc2ce8ed0, v9
	v_cvt_i32_f32_e32 v27, v41
	v_cvt_i32_f32_e32 v29, v43
	s_delay_alu instid0(VALU_DEP_4) | instskip(SKIP_4) | instid1(VALU_DEP_2)
	v_exp_f32_e32 v25, v25
	v_cndmask_b32_e32 v19, 0, v19, vcc_lo
	v_cmp_ngt_f32_e32 vcc_lo, 0xc2ce8ed0, v21
	v_add_f32_e32 v24, v24, v38
	v_dual_add_f32 v26, v26, v42 :: v_dual_cndmask_b32 v23, 0, v23
	v_exp_f32_e32 v24, v24
	s_delay_alu instid0(VALU_DEP_1) | instskip(SKIP_1) | instid1(TRANS32_DEP_3)
	v_exp_f32_e32 v26, v26
	v_cmp_ngt_f32_e32 vcc_lo, 0xc2ce8ed0, v10
	v_ldexp_f32 v25, v25, v27
	s_waitcnt_depctr 0xfff
	v_ldexp_f32 v24, v24, v39
	v_ldexp_f32 v26, v26, v29
	s_delay_alu instid0(VALU_DEP_2)
	v_cndmask_b32_e32 v24, 0, v24, vcc_lo
	v_cmp_ngt_f32_e32 vcc_lo, 0xc2ce8ed0, v22
	v_cndmask_b32_e32 v25, 0, v25, vcc_lo
	v_cmp_ngt_f32_e32 vcc_lo, 0xc2ce8ed0, v11
	v_cndmask_b32_e32 v26, 0, v26, vcc_lo
	v_cmp_nlt_f32_e32 vcc_lo, 0x42b17218, v14
	v_cndmask_b32_e32 v14, 0x7f800000, v16, vcc_lo
	v_cmp_nlt_f32_e32 vcc_lo, 0x42b17218, v8
	;; [unrolled: 2-line block ×3, first 2 shown]
	s_delay_alu instid0(VALU_DEP_2)
	v_fmac_f32_e32 v8, v4, v14
	v_cndmask_b32_e32 v16, 0x7f800000, v18, vcc_lo
	v_cmp_nlt_f32_e32 vcc_lo, 0x42b17218, v9
	v_cvt_f16_f32_e32 v4, v14
	v_cndmask_b32_e32 v9, 0x7f800000, v19, vcc_lo
	v_cmp_nlt_f32_e32 vcc_lo, 0x42b17218, v21
	s_delay_alu instid0(VALU_DEP_3)
	v_pk_mul_f16 v59, v4, v59 op_sel_hi:[0,1]
	v_pk_mul_f16 v64, v4, v64 op_sel_hi:[0,1]
	;; [unrolled: 1-line block ×3, first 2 shown]
	v_fmac_f32_e32 v9, v5, v16
	v_cndmask_b32_e32 v17, 0x7f800000, v23, vcc_lo
	v_cmp_nlt_f32_e32 vcc_lo, 0x42b17218, v10
	v_cvt_f16_f32_e32 v5, v16
	v_pk_mul_f16 v63, v4, v63 op_sel_hi:[0,1]
	v_mov_b32_e32 v4, v8
	s_delay_alu instid0(VALU_DEP_3)
	v_pk_mul_f16 v57, v5, v57 op_sel_hi:[0,1]
	v_pk_mul_f16 v61, v5, v61 op_sel_hi:[0,1]
	;; [unrolled: 1-line block ×4, first 2 shown]
	v_dual_mov_b32 v5, v9 :: v_dual_cndmask_b32 v10, 0x7f800000, v24
	v_cmp_nlt_f32_e32 vcc_lo, 0x42b17218, v22
	s_delay_alu instid0(VALU_DEP_2) | instskip(SKIP_4) | instid1(VALU_DEP_2)
	v_fmac_f32_e32 v10, v6, v17
	v_cndmask_b32_e32 v18, 0x7f800000, v25, vcc_lo
	v_cmp_nlt_f32_e32 vcc_lo, 0x42b17218, v11
	v_cvt_f16_f32_e32 v6, v17
	v_cndmask_b32_e32 v11, 0x7f800000, v26, vcc_lo
	v_pk_mul_f16 v53, v6, v53 op_sel_hi:[0,1]
	v_pk_mul_f16 v56, v6, v56 op_sel_hi:[0,1]
	v_pk_mul_f16 v54, v6, v54 op_sel_hi:[0,1]
	v_pk_mul_f16 v55, v6, v55 op_sel_hi:[0,1]
	v_fmac_f32_e32 v11, v7, v18
	v_cvt_f16_f32_e32 v7, v18
	v_mov_b32_e32 v6, v10
	s_delay_alu instid0(VALU_DEP_2)
	v_pk_mul_f16 v51, v7, v51 op_sel_hi:[0,1]
	v_pk_mul_f16 v52, v7, v52 op_sel_hi:[0,1]
	;; [unrolled: 1-line block ×4, first 2 shown]
	v_mov_b32_e32 v7, v11
.LBB5_88:
	s_load_b32 s1, s[0:1], 0xd4
	v_mov_b32_e32 v14, 1.0
	s_waitcnt lgkmcnt(0)
	s_cmp_lg_u32 s1, 1
	s_cselect_b32 s3, -1, 0
	s_cmp_eq_u32 s1, 1
	s_cselect_b32 s2, -1, 0
	s_and_b32 vcc_lo, exec_lo, s3
	s_cbranch_vccnz .LBB5_90
; %bb.89:
	v_div_scale_f32 v14, null, v4, v4, 1.0
	s_delay_alu instid0(VALU_DEP_1) | instskip(SKIP_2) | instid1(VALU_DEP_1)
	v_rcp_f32_e32 v16, v14
	s_waitcnt_depctr 0xfff
	v_fma_f32 v17, -v14, v16, 1.0
	v_fmac_f32_e32 v16, v17, v16
	v_div_scale_f32 v17, vcc_lo, 1.0, v4, 1.0
	s_delay_alu instid0(VALU_DEP_1) | instskip(NEXT) | instid1(VALU_DEP_1)
	v_mul_f32_e32 v18, v17, v16
	v_fma_f32 v19, -v14, v18, v17
	s_delay_alu instid0(VALU_DEP_1) | instskip(NEXT) | instid1(VALU_DEP_1)
	v_fmac_f32_e32 v18, v19, v16
	v_fma_f32 v14, -v14, v18, v17
	s_delay_alu instid0(VALU_DEP_1) | instskip(NEXT) | instid1(VALU_DEP_1)
	v_div_fmas_f32 v14, v14, v16, v18
	v_div_fixup_f32 v14, v14, v4, 1.0
.LBB5_90:
	v_mad_u64_u32 v[16:17], null, s12, s6, v[12:13]
	v_cmp_eq_u32_e32 vcc_lo, 0, v13
	v_lshrrev_b32_e32 v4, 16, v64
	v_lshrrev_b32_e32 v19, 16, v63
	;; [unrolled: 1-line block ×3, first 2 shown]
	v_cvt_f32_f16_e32 v22, v62
	s_delay_alu instid0(VALU_DEP_4)
	v_cvt_f32_f16_e32 v4, v4
	v_mad_u64_u32 v[17:18], null, v16, s7, v[15:16]
	v_cvt_f32_f16_e32 v15, v64
	v_lshrrev_b32_e32 v16, 16, v59
	v_mov_b32_e32 v24, 0
	v_cvt_f32_f16_e32 v18, v59
	v_cvt_f32_f16_e32 v27, v19
	v_mul_f32_e32 v19, v14, v22
	v_mad_u64_u32 v[12:13], null, s1, v17, s[14:15]
	v_mul_f32_e32 v17, v14, v15
	v_cvt_f32_f16_e32 v13, v63
	v_cvt_f32_f16_e32 v16, v16
	v_mul_f32_e32 v15, v14, v18
	v_mul_f32_e32 v22, v14, v27
	;; [unrolled: 1-line block ×3, first 2 shown]
	v_lshl_add_u32 v23, v12, 8, v31
	v_mul_f32_e32 v21, v14, v13
	v_cvt_f32_f16_e32 v13, v20
	v_mul_f32_e32 v16, v14, v16
	s_delay_alu instid0(VALU_DEP_4) | instskip(NEXT) | instid1(VALU_DEP_3)
	v_lshlrev_b64 v[25:26], 2, v[23:24]
	v_dual_mul_f32 v20, v14, v13 :: v_dual_add_nc_u32 v23, 0x80, v23
	s_delay_alu instid0(VALU_DEP_1) | instskip(NEXT) | instid1(VALU_DEP_3)
	v_lshlrev_b64 v[13:14], 2, v[23:24]
	v_add_co_u32 v23, s0, s28, v25
	s_delay_alu instid0(VALU_DEP_1) | instskip(NEXT) | instid1(VALU_DEP_3)
	v_add_co_ci_u32_e64 v24, s0, s29, v26, s0
	v_add_co_u32 v13, s0, s28, v13
	s_delay_alu instid0(VALU_DEP_1)
	v_add_co_ci_u32_e64 v14, s0, s29, v14, s0
	s_and_b32 s0, vcc_lo, s3
	s_clause 0x1
	global_store_b128 v[23:24], v[15:18], off
	global_store_b128 v[13:14], v[19:22], off
	s_and_saveexec_b32 s3, s0
	s_cbranch_execz .LBB5_92
; %bb.91:
	v_ashrrev_i32_e32 v13, 31, v12
	v_mov_b32_e32 v15, v0
	v_mov_b32_e32 v16, v8
	s_delay_alu instid0(VALU_DEP_3) | instskip(NEXT) | instid1(VALU_DEP_1)
	v_lshlrev_b64 v[13:14], 3, v[12:13]
	v_add_co_u32 v13, vcc_lo, s30, v13
	s_delay_alu instid0(VALU_DEP_2)
	v_add_co_ci_u32_e32 v14, vcc_lo, s31, v14, vcc_lo
	global_store_b64 v[13:14], v[15:16], off
.LBB5_92:
	s_or_b32 exec_lo, exec_lo, s3
	v_cndmask_b32_e64 v13, 0, 1, s2
	v_mov_b32_e32 v0, 1.0
	s_and_not1_b32 vcc_lo, exec_lo, s2
	s_cbranch_vccnz .LBB5_94
; %bb.93:
	v_div_scale_f32 v0, null, v5, v5, 1.0
	s_delay_alu instid0(VALU_DEP_1) | instskip(SKIP_2) | instid1(VALU_DEP_1)
	v_rcp_f32_e32 v4, v0
	s_waitcnt_depctr 0xfff
	v_fma_f32 v8, -v0, v4, 1.0
	v_fmac_f32_e32 v4, v8, v4
	v_div_scale_f32 v8, vcc_lo, 1.0, v5, 1.0
	s_delay_alu instid0(VALU_DEP_1) | instskip(NEXT) | instid1(VALU_DEP_1)
	v_mul_f32_e32 v14, v8, v4
	v_fma_f32 v15, -v0, v14, v8
	s_delay_alu instid0(VALU_DEP_1) | instskip(NEXT) | instid1(VALU_DEP_1)
	v_fmac_f32_e32 v14, v15, v4
	v_fma_f32 v0, -v0, v14, v8
	s_delay_alu instid0(VALU_DEP_1) | instskip(NEXT) | instid1(VALU_DEP_1)
	v_div_fmas_f32 v0, v0, v4, v14
	v_div_fixup_f32 v0, v0, v5, 1.0
.LBB5_94:
	v_lshrrev_b32_e32 v5, 16, v61
	v_dual_mov_b32 v19, 0 :: v_dual_add_nc_u32 v4, s1, v12
	v_lshrrev_b32_e32 v8, 16, v57
	v_cvt_f32_f16_e32 v12, v61
	s_delay_alu instid0(VALU_DEP_4) | instskip(NEXT) | instid1(VALU_DEP_4)
	v_cvt_f32_f16_e32 v5, v5
	v_lshl_add_u32 v18, v4, 8, v31
	v_cvt_f32_f16_e32 v14, v57
	v_cvt_f32_f16_e32 v8, v8
	v_mul_f32_e32 v16, v0, v12
	v_mul_f32_e32 v17, v0, v5
	v_lshlrev_b64 v[20:21], 2, v[18:19]
	s_delay_alu instid0(VALU_DEP_4) | instskip(SKIP_3) | instid1(VALU_DEP_4)
	v_dual_mul_f32 v15, v0, v8 :: v_dual_add_nc_u32 v18, 0x80, v18
	v_lshrrev_b32_e32 v5, 16, v58
	v_lshrrev_b32_e32 v8, 16, v60
	v_cvt_f32_f16_e32 v12, v58
	v_lshlrev_b64 v[24:25], 2, v[18:19]
	v_add_co_u32 v22, vcc_lo, s28, v20
	v_cvt_f32_f16_e32 v5, v5
	v_cvt_f32_f16_e32 v8, v8
	;; [unrolled: 1-line block ×3, first 2 shown]
	v_add_co_ci_u32_e32 v23, vcc_lo, s29, v21, vcc_lo
	v_add_co_u32 v24, vcc_lo, s28, v24
	v_mul_f32_e32 v14, v0, v14
	v_mul_f32_e32 v21, v0, v5
	v_mul_f32_e32 v20, v0, v12
	v_mul_f32_e32 v19, v0, v8
	v_mul_f32_e32 v18, v0, v26
	v_add_co_ci_u32_e32 v25, vcc_lo, s29, v25, vcc_lo
	s_clause 0x1
	global_store_b128 v[22:23], v[14:17], off
	global_store_b128 v[24:25], v[18:21], off
	s_and_saveexec_b32 s2, s0
	s_cbranch_execz .LBB5_96
; %bb.95:
	v_ashrrev_i32_e32 v5, 31, v4
	v_mov_b32_e32 v8, v1
	s_delay_alu instid0(VALU_DEP_2) | instskip(NEXT) | instid1(VALU_DEP_1)
	v_lshlrev_b64 v[14:15], 3, v[4:5]
	v_add_co_u32 v14, vcc_lo, s30, v14
	s_delay_alu instid0(VALU_DEP_2)
	v_add_co_ci_u32_e32 v15, vcc_lo, s31, v15, vcc_lo
	global_store_b64 v[14:15], v[8:9], off
.LBB5_96:
	s_or_b32 exec_lo, exec_lo, s2
	v_cmp_ne_u32_e32 vcc_lo, 1, v13
	v_mov_b32_e32 v1, 1.0
	s_cbranch_vccnz .LBB5_98
; %bb.97:
	v_div_scale_f32 v0, null, v6, v6, 1.0
	s_delay_alu instid0(VALU_DEP_1) | instskip(SKIP_2) | instid1(VALU_DEP_1)
	v_rcp_f32_e32 v1, v0
	s_waitcnt_depctr 0xfff
	v_fma_f32 v5, -v0, v1, 1.0
	v_fmac_f32_e32 v1, v5, v1
	v_div_scale_f32 v5, vcc_lo, 1.0, v6, 1.0
	s_delay_alu instid0(VALU_DEP_1) | instskip(NEXT) | instid1(VALU_DEP_1)
	v_mul_f32_e32 v8, v5, v1
	v_fma_f32 v9, -v0, v8, v5
	s_delay_alu instid0(VALU_DEP_1) | instskip(NEXT) | instid1(VALU_DEP_1)
	v_fmac_f32_e32 v8, v9, v1
	v_fma_f32 v0, -v0, v8, v5
	s_delay_alu instid0(VALU_DEP_1) | instskip(NEXT) | instid1(VALU_DEP_1)
	v_div_fmas_f32 v0, v0, v1, v8
	v_div_fixup_f32 v1, v0, v6, 1.0
.LBB5_98:
	v_lshrrev_b32_e32 v6, 16, v56
	v_dual_mov_b32 v5, 0 :: v_dual_add_nc_u32 v0, s1, v4
	v_lshrrev_b32_e32 v8, 16, v53
	v_cvt_f32_f16_e32 v9, v56
	s_delay_alu instid0(VALU_DEP_4) | instskip(NEXT) | instid1(VALU_DEP_4)
	v_cvt_f32_f16_e32 v6, v6
	v_lshl_add_u32 v4, v0, 8, v31
	v_cvt_f32_f16_e32 v14, v53
	v_cvt_f32_f16_e32 v12, v8
	v_mul_f32_e32 v16, v1, v9
	v_mul_f32_e32 v17, v1, v6
	v_lshlrev_b64 v[8:9], 2, v[4:5]
	v_add_nc_u32_e32 v4, 0x80, v4
	v_mul_f32_e32 v15, v1, v12
	v_lshrrev_b32_e32 v6, 16, v55
	v_lshrrev_b32_e32 v12, 16, v54
	v_cvt_f32_f16_e32 v18, v55
	v_lshlrev_b64 v[4:5], 2, v[4:5]
	v_add_co_u32 v8, vcc_lo, s28, v8
	v_cvt_f32_f16_e32 v6, v6
	v_cvt_f32_f16_e32 v12, v12
	;; [unrolled: 1-line block ×3, first 2 shown]
	v_add_co_ci_u32_e32 v9, vcc_lo, s29, v9, vcc_lo
	v_add_co_u32 v4, vcc_lo, s28, v4
	v_mul_f32_e32 v14, v1, v14
	v_mul_f32_e32 v21, v1, v6
	;; [unrolled: 1-line block ×5, first 2 shown]
	v_add_co_ci_u32_e32 v5, vcc_lo, s29, v5, vcc_lo
	s_clause 0x1
	global_store_b128 v[8:9], v[14:17], off
	global_store_b128 v[4:5], v[18:21], off
	s_and_saveexec_b32 s2, s0
	s_cbranch_execz .LBB5_100
; %bb.99:
	v_ashrrev_i32_e32 v1, 31, v0
	v_mov_b32_e32 v9, v2
	s_delay_alu instid0(VALU_DEP_2) | instskip(NEXT) | instid1(VALU_DEP_1)
	v_lshlrev_b64 v[4:5], 3, v[0:1]
	v_add_co_u32 v4, vcc_lo, s30, v4
	s_delay_alu instid0(VALU_DEP_2)
	v_add_co_ci_u32_e32 v5, vcc_lo, s31, v5, vcc_lo
	global_store_b64 v[4:5], v[9:10], off
.LBB5_100:
	s_or_b32 exec_lo, exec_lo, s2
	v_cmp_ne_u32_e32 vcc_lo, 1, v13
	v_mov_b32_e32 v1, 1.0
	s_cbranch_vccnz .LBB5_102
; %bb.101:
	v_div_scale_f32 v1, null, v7, v7, 1.0
	s_delay_alu instid0(VALU_DEP_1) | instskip(SKIP_2) | instid1(VALU_DEP_1)
	v_rcp_f32_e32 v2, v1
	s_waitcnt_depctr 0xfff
	v_fma_f32 v4, -v1, v2, 1.0
	v_fmac_f32_e32 v2, v4, v2
	v_div_scale_f32 v4, vcc_lo, 1.0, v7, 1.0
	s_delay_alu instid0(VALU_DEP_1) | instskip(NEXT) | instid1(VALU_DEP_1)
	v_mul_f32_e32 v5, v4, v2
	v_fma_f32 v6, -v1, v5, v4
	s_delay_alu instid0(VALU_DEP_1) | instskip(NEXT) | instid1(VALU_DEP_1)
	v_fmac_f32_e32 v5, v6, v2
	v_fma_f32 v1, -v1, v5, v4
	s_delay_alu instid0(VALU_DEP_1) | instskip(NEXT) | instid1(VALU_DEP_1)
	v_div_fmas_f32 v1, v1, v2, v5
	v_div_fixup_f32 v1, v1, v7, 1.0
.LBB5_102:
	v_lshrrev_b32_e32 v2, 16, v52
	v_dual_mov_b32 v9, 0 :: v_dual_add_nc_u32 v0, s1, v0
	v_lshrrev_b32_e32 v4, 16, v51
	v_cvt_f32_f16_e32 v5, v52
	s_delay_alu instid0(VALU_DEP_4) | instskip(NEXT) | instid1(VALU_DEP_4)
	v_cvt_f32_f16_e32 v2, v2
	v_lshl_add_u32 v8, v0, 8, v31
	v_cvt_f32_f16_e32 v10, v51
	v_cvt_f32_f16_e32 v4, v4
	v_mul_f32_e32 v6, v1, v5
	v_mul_f32_e32 v7, v1, v2
	v_lshlrev_b64 v[12:13], 2, v[8:9]
	v_add_nc_u32_e32 v8, 0x80, v8
	v_mul_f32_e32 v5, v1, v4
	v_mul_f32_e32 v4, v1, v10
	v_lshrrev_b32_e32 v2, 16, v49
	v_lshrrev_b32_e32 v10, 16, v50
	v_lshlrev_b64 v[8:9], 2, v[8:9]
	v_add_co_u32 v16, vcc_lo, s28, v12
	s_delay_alu instid0(VALU_DEP_4)
	v_cvt_f32_f16_e32 v2, v2
	v_cvt_f32_f16_e32 v12, v49
	;; [unrolled: 1-line block ×4, first 2 shown]
	v_add_co_ci_u32_e32 v17, vcc_lo, s29, v13, vcc_lo
	v_mul_f32_e32 v15, v1, v2
	v_mul_f32_e32 v14, v1, v12
	;; [unrolled: 1-line block ×4, first 2 shown]
	v_add_co_u32 v1, vcc_lo, s28, v8
	v_add_co_ci_u32_e32 v2, vcc_lo, s29, v9, vcc_lo
	s_clause 0x1
	global_store_b128 v[16:17], v[4:7], off
	global_store_b128 v[1:2], v[12:15], off
	s_and_saveexec_b32 s1, s0
	s_cbranch_execz .LBB5_104
; %bb.103:
	v_ashrrev_i32_e32 v1, 31, v0
	v_mov_b32_e32 v10, v3
	s_delay_alu instid0(VALU_DEP_2) | instskip(NEXT) | instid1(VALU_DEP_1)
	v_lshlrev_b64 v[0:1], 3, v[0:1]
	v_add_co_u32 v0, vcc_lo, s30, v0
	s_delay_alu instid0(VALU_DEP_2)
	v_add_co_ci_u32_e32 v1, vcc_lo, s31, v1, vcc_lo
	global_store_b64 v[0:1], v[10:11], off
.LBB5_104:
	s_nop 0
	s_sendmsg sendmsg(MSG_DEALLOC_VGPRS)
	s_endpgm
	.section	.rodata,"a",@progbits
	.p2align	6, 0x0
	.amdhsa_kernel _ZL15flash_attn_tileILi320ELi256ELi1ELi32ELb1EEvPKcS1_S1_S1_S1_PKiPfP15HIP_vector_typeIfLj2EEffffjfiS5_IjLj3EEiiiiiiiiiiiliiliiiiil
		.amdhsa_group_segment_fixed_size 47104
		.amdhsa_private_segment_fixed_size 0
		.amdhsa_kernarg_size 464
		.amdhsa_user_sgpr_count 13
		.amdhsa_user_sgpr_dispatch_ptr 0
		.amdhsa_user_sgpr_queue_ptr 0
		.amdhsa_user_sgpr_kernarg_segment_ptr 1
		.amdhsa_user_sgpr_dispatch_id 0
		.amdhsa_user_sgpr_private_segment_size 0
		.amdhsa_wavefront_size32 1
		.amdhsa_uses_dynamic_stack 0
		.amdhsa_enable_private_segment 0
		.amdhsa_system_sgpr_workgroup_id_x 1
		.amdhsa_system_sgpr_workgroup_id_y 1
		.amdhsa_system_sgpr_workgroup_id_z 1
		.amdhsa_system_sgpr_workgroup_info 0
		.amdhsa_system_vgpr_workitem_id 1
		.amdhsa_next_free_vgpr 219
		.amdhsa_next_free_sgpr 40
		.amdhsa_reserve_vcc 1
		.amdhsa_float_round_mode_32 0
		.amdhsa_float_round_mode_16_64 0
		.amdhsa_float_denorm_mode_32 3
		.amdhsa_float_denorm_mode_16_64 3
		.amdhsa_dx10_clamp 1
		.amdhsa_ieee_mode 1
		.amdhsa_fp16_overflow 0
		.amdhsa_workgroup_processor_mode 1
		.amdhsa_memory_ordered 1
		.amdhsa_forward_progress 0
		.amdhsa_shared_vgpr_count 0
		.amdhsa_exception_fp_ieee_invalid_op 0
		.amdhsa_exception_fp_denorm_src 0
		.amdhsa_exception_fp_ieee_div_zero 0
		.amdhsa_exception_fp_ieee_overflow 0
		.amdhsa_exception_fp_ieee_underflow 0
		.amdhsa_exception_fp_ieee_inexact 0
		.amdhsa_exception_int_div_zero 0
	.end_amdhsa_kernel
	.section	.text._ZL15flash_attn_tileILi320ELi256ELi1ELi32ELb1EEvPKcS1_S1_S1_S1_PKiPfP15HIP_vector_typeIfLj2EEffffjfiS5_IjLj3EEiiiiiiiiiiiliiliiiiil,"axG",@progbits,_ZL15flash_attn_tileILi320ELi256ELi1ELi32ELb1EEvPKcS1_S1_S1_S1_PKiPfP15HIP_vector_typeIfLj2EEffffjfiS5_IjLj3EEiiiiiiiiiiiliiliiiiil,comdat
.Lfunc_end5:
	.size	_ZL15flash_attn_tileILi320ELi256ELi1ELi32ELb1EEvPKcS1_S1_S1_S1_PKiPfP15HIP_vector_typeIfLj2EEffffjfiS5_IjLj3EEiiiiiiiiiiiliiliiiiil, .Lfunc_end5-_ZL15flash_attn_tileILi320ELi256ELi1ELi32ELb1EEvPKcS1_S1_S1_S1_PKiPfP15HIP_vector_typeIfLj2EEffffjfiS5_IjLj3EEiiiiiiiiiiiliiliiiiil
                                        ; -- End function
	.section	.AMDGPU.csdata,"",@progbits
; Kernel info:
; codeLenInByte = 87784
; NumSgprs: 42
; NumVgprs: 219
; ScratchSize: 0
; MemoryBound: 0
; FloatMode: 240
; IeeeMode: 1
; LDSByteSize: 47104 bytes/workgroup (compile time only)
; SGPRBlocks: 5
; VGPRBlocks: 27
; NumSGPRsForWavesPerEU: 42
; NumVGPRsForWavesPerEU: 219
; Occupancy: 4
; WaveLimiterHint : 1
; COMPUTE_PGM_RSRC2:SCRATCH_EN: 0
; COMPUTE_PGM_RSRC2:USER_SGPR: 13
; COMPUTE_PGM_RSRC2:TRAP_HANDLER: 0
; COMPUTE_PGM_RSRC2:TGID_X_EN: 1
; COMPUTE_PGM_RSRC2:TGID_Y_EN: 1
; COMPUTE_PGM_RSRC2:TGID_Z_EN: 1
; COMPUTE_PGM_RSRC2:TIDIG_COMP_CNT: 1
	.text
	.p2alignl 7, 3214868480
	.fill 96, 4, 3214868480
	.type	__hip_cuid_a7fd1ec100605e66,@object ; @__hip_cuid_a7fd1ec100605e66
	.section	.bss,"aw",@nobits
	.globl	__hip_cuid_a7fd1ec100605e66
__hip_cuid_a7fd1ec100605e66:
	.byte	0                               ; 0x0
	.size	__hip_cuid_a7fd1ec100605e66, 1

	.ident	"AMD clang version 19.0.0git (https://github.com/RadeonOpenCompute/llvm-project roc-6.4.0 25133 c7fe45cf4b819c5991fe208aaa96edf142730f1d)"
	.section	".note.GNU-stack","",@progbits
	.addrsig
	.addrsig_sym __hip_cuid_a7fd1ec100605e66
	.amdgpu_metadata
---
amdhsa.kernels:
  - .args:
      - .address_space:  global
        .offset:         0
        .size:           8
        .value_kind:     global_buffer
      - .address_space:  global
        .offset:         8
        .size:           8
        .value_kind:     global_buffer
      - .address_space:  global
        .offset:         16
        .size:           8
        .value_kind:     global_buffer
      - .address_space:  global
        .offset:         24
        .size:           8
        .value_kind:     global_buffer
      - .address_space:  global
        .offset:         32
        .size:           8
        .value_kind:     global_buffer
      - .address_space:  global
        .offset:         40
        .size:           8
        .value_kind:     global_buffer
      - .address_space:  global
        .offset:         48
        .size:           8
        .value_kind:     global_buffer
      - .address_space:  global
        .offset:         56
        .size:           8
        .value_kind:     global_buffer
      - .offset:         64
        .size:           4
        .value_kind:     by_value
      - .offset:         68
        .size:           4
        .value_kind:     by_value
      - .offset:         72
        .size:           4
        .value_kind:     by_value
      - .offset:         76
        .size:           4
        .value_kind:     by_value
      - .offset:         80
        .size:           4
        .value_kind:     by_value
      - .offset:         84
        .size:           4
        .value_kind:     by_value
      - .offset:         88
        .size:           4
        .value_kind:     by_value
      - .offset:         92
        .size:           12
        .value_kind:     by_value
      - .offset:         104
        .size:           4
        .value_kind:     by_value
      - .offset:         108
        .size:           4
        .value_kind:     by_value
      - .offset:         112
        .size:           4
        .value_kind:     by_value
      - .offset:         116
        .size:           4
        .value_kind:     by_value
      - .offset:         120
        .size:           4
        .value_kind:     by_value
      - .offset:         124
        .size:           4
        .value_kind:     by_value
      - .offset:         128
        .size:           4
        .value_kind:     by_value
      - .offset:         132
        .size:           4
        .value_kind:     by_value
      - .offset:         136
        .size:           4
        .value_kind:     by_value
      - .offset:         140
        .size:           4
        .value_kind:     by_value
      - .offset:         144
        .size:           4
        .value_kind:     by_value
      - .offset:         152
        .size:           8
        .value_kind:     by_value
      - .offset:         160
        .size:           4
        .value_kind:     by_value
      - .offset:         164
        .size:           4
        .value_kind:     by_value
      - .offset:         168
        .size:           8
        .value_kind:     by_value
      - .offset:         176
        .size:           4
        .value_kind:     by_value
      - .offset:         180
        .size:           4
        .value_kind:     by_value
      - .offset:         184
        .size:           4
        .value_kind:     by_value
      - .offset:         188
        .size:           4
        .value_kind:     by_value
      - .offset:         192
        .size:           4
        .value_kind:     by_value
      - .offset:         200
        .size:           8
        .value_kind:     by_value
      - .offset:         208
        .size:           4
        .value_kind:     hidden_block_count_x
      - .offset:         212
        .size:           4
        .value_kind:     hidden_block_count_y
      - .offset:         216
        .size:           4
        .value_kind:     hidden_block_count_z
      - .offset:         220
        .size:           2
        .value_kind:     hidden_group_size_x
      - .offset:         222
        .size:           2
        .value_kind:     hidden_group_size_y
      - .offset:         224
        .size:           2
        .value_kind:     hidden_group_size_z
      - .offset:         226
        .size:           2
        .value_kind:     hidden_remainder_x
      - .offset:         228
        .size:           2
        .value_kind:     hidden_remainder_y
      - .offset:         230
        .size:           2
        .value_kind:     hidden_remainder_z
      - .offset:         248
        .size:           8
        .value_kind:     hidden_global_offset_x
      - .offset:         256
        .size:           8
        .value_kind:     hidden_global_offset_y
      - .offset:         264
        .size:           8
        .value_kind:     hidden_global_offset_z
      - .offset:         272
        .size:           2
        .value_kind:     hidden_grid_dims
    .group_segment_fixed_size: 47104
    .kernarg_segment_align: 8
    .kernarg_segment_size: 464
    .language:       OpenCL C
    .language_version:
      - 2
      - 0
    .max_flat_workgroup_size: 256
    .name:           _ZL15flash_attn_tileILi320ELi256ELi1ELi32ELb0EEvPKcS1_S1_S1_S1_PKiPfP15HIP_vector_typeIfLj2EEffffjfiS5_IjLj3EEiiiiiiiiiiiliiliiiiil
    .private_segment_fixed_size: 0
    .sgpr_count:     42
    .sgpr_spill_count: 0
    .symbol:         _ZL15flash_attn_tileILi320ELi256ELi1ELi32ELb0EEvPKcS1_S1_S1_S1_PKiPfP15HIP_vector_typeIfLj2EEffffjfiS5_IjLj3EEiiiiiiiiiiiliiliiiiil.kd
    .uniform_work_group_size: 1
    .uses_dynamic_stack: false
    .vgpr_count:     129
    .vgpr_spill_count: 0
    .wavefront_size: 32
    .workgroup_processor_mode: 1
  - .args:
      - .actual_access:  read_only
        .address_space:  global
        .offset:         0
        .size:           8
        .value_kind:     global_buffer
      - .actual_access:  write_only
        .address_space:  global
        .offset:         8
        .size:           8
        .value_kind:     global_buffer
      - .offset:         16
        .size:           4
        .value_kind:     by_value
      - .offset:         20
        .size:           4
        .value_kind:     by_value
      - .offset:         24
        .size:           4
        .value_kind:     by_value
      - .offset:         32
        .size:           4
        .value_kind:     hidden_block_count_x
      - .offset:         36
        .size:           4
        .value_kind:     hidden_block_count_y
      - .offset:         40
        .size:           4
        .value_kind:     hidden_block_count_z
      - .offset:         44
        .size:           2
        .value_kind:     hidden_group_size_x
      - .offset:         46
        .size:           2
        .value_kind:     hidden_group_size_y
      - .offset:         48
        .size:           2
        .value_kind:     hidden_group_size_z
      - .offset:         50
        .size:           2
        .value_kind:     hidden_remainder_x
      - .offset:         52
        .size:           2
        .value_kind:     hidden_remainder_y
      - .offset:         54
        .size:           2
        .value_kind:     hidden_remainder_z
      - .offset:         72
        .size:           8
        .value_kind:     hidden_global_offset_x
      - .offset:         80
        .size:           8
        .value_kind:     hidden_global_offset_y
      - .offset:         88
        .size:           8
        .value_kind:     hidden_global_offset_z
      - .offset:         96
        .size:           2
        .value_kind:     hidden_grid_dims
    .group_segment_fixed_size: 128
    .kernarg_segment_align: 8
    .kernarg_segment_size: 288
    .language:       OpenCL C
    .language_version:
      - 2
      - 0
    .max_flat_workgroup_size: 128
    .name:           _ZL25flash_attn_mask_to_KV_maxILi1EEvPK7__half2Piiii
    .private_segment_fixed_size: 0
    .sgpr_count:     18
    .sgpr_spill_count: 0
    .symbol:         _ZL25flash_attn_mask_to_KV_maxILi1EEvPK7__half2Piiii.kd
    .uniform_work_group_size: 1
    .uses_dynamic_stack: false
    .vgpr_count:     7
    .vgpr_spill_count: 0
    .wavefront_size: 32
    .workgroup_processor_mode: 1
  - .args:
      - .address_space:  global
        .offset:         0
        .size:           8
        .value_kind:     global_buffer
      - .address_space:  global
        .offset:         8
        .size:           8
        .value_kind:     global_buffer
      - .offset:         16
        .size:           4
        .value_kind:     by_value
      - .offset:         20
        .size:           4
        .value_kind:     by_value
      - .offset:         24
        .size:           4
        .value_kind:     by_value
      - .offset:         28
        .size:           4
        .value_kind:     by_value
      - .offset:         32
        .size:           4
        .value_kind:     by_value
      - .offset:         36
        .size:           4
        .value_kind:     by_value
      - .offset:         40
        .size:           12
        .value_kind:     by_value
      - .offset:         52
        .size:           12
        .value_kind:     by_value
      - .offset:         64
        .size:           12
        .value_kind:     by_value
    .group_segment_fixed_size: 0
    .kernarg_segment_align: 8
    .kernarg_segment_size: 76
    .language:       OpenCL C
    .language_version:
      - 2
      - 0
    .max_flat_workgroup_size: 256
    .name:           _ZL33flash_attn_stream_k_fixup_uniformILi256ELi1ELi32EEvPfPK15HIP_vector_typeIfLj2EEiiiiiiS1_IjLj3EES5_S5_
    .private_segment_fixed_size: 0
    .sgpr_count:     22
    .sgpr_spill_count: 0
    .symbol:         _ZL33flash_attn_stream_k_fixup_uniformILi256ELi1ELi32EEvPfPK15HIP_vector_typeIfLj2EEiiiiiiS1_IjLj3EES5_S5_.kd
    .uniform_work_group_size: 1
    .uses_dynamic_stack: false
    .vgpr_count:     15
    .vgpr_spill_count: 0
    .wavefront_size: 32
    .workgroup_processor_mode: 1
  - .args:
      - .address_space:  global
        .offset:         0
        .size:           8
        .value_kind:     global_buffer
      - .address_space:  global
        .offset:         8
        .size:           8
        .value_kind:     global_buffer
      - .offset:         16
        .size:           4
        .value_kind:     by_value
      - .offset:         20
        .size:           4
        .value_kind:     by_value
      - .offset:         24
        .size:           4
        .value_kind:     by_value
      - .offset:         28
        .size:           4
        .value_kind:     by_value
      - .offset:         32
        .size:           12
        .value_kind:     by_value
      - .offset:         44
        .size:           12
        .value_kind:     by_value
      - .offset:         56
        .size:           12
        .value_kind:     by_value
      - .offset:         68
        .size:           12
        .value_kind:     by_value
      - .offset:         80
        .size:           4
        .value_kind:     hidden_block_count_x
      - .offset:         84
        .size:           4
        .value_kind:     hidden_block_count_y
      - .offset:         88
        .size:           4
        .value_kind:     hidden_block_count_z
      - .offset:         92
        .size:           2
        .value_kind:     hidden_group_size_x
      - .offset:         94
        .size:           2
        .value_kind:     hidden_group_size_y
      - .offset:         96
        .size:           2
        .value_kind:     hidden_group_size_z
      - .offset:         98
        .size:           2
        .value_kind:     hidden_remainder_x
      - .offset:         100
        .size:           2
        .value_kind:     hidden_remainder_y
      - .offset:         102
        .size:           2
        .value_kind:     hidden_remainder_z
      - .offset:         120
        .size:           8
        .value_kind:     hidden_global_offset_x
      - .offset:         128
        .size:           8
        .value_kind:     hidden_global_offset_y
      - .offset:         136
        .size:           8
        .value_kind:     hidden_global_offset_z
      - .offset:         144
        .size:           2
        .value_kind:     hidden_grid_dims
    .group_segment_fixed_size: 0
    .kernarg_segment_align: 8
    .kernarg_segment_size: 336
    .language:       OpenCL C
    .language_version:
      - 2
      - 0
    .max_flat_workgroup_size: 256
    .name:           _ZL33flash_attn_stream_k_fixup_generalILi256ELi1ELi32EEvPfPK15HIP_vector_typeIfLj2EEiiiiS1_IjLj3EES5_S5_S5_
    .private_segment_fixed_size: 0
    .sgpr_count:     34
    .sgpr_spill_count: 0
    .symbol:         _ZL33flash_attn_stream_k_fixup_generalILi256ELi1ELi32EEvPfPK15HIP_vector_typeIfLj2EEiiiiS1_IjLj3EES5_S5_S5_.kd
    .uniform_work_group_size: 1
    .uses_dynamic_stack: false
    .vgpr_count:     19
    .vgpr_spill_count: 0
    .wavefront_size: 32
    .workgroup_processor_mode: 1
  - .args:
      - .address_space:  global
        .offset:         0
        .size:           8
        .value_kind:     global_buffer
      - .address_space:  global
        .offset:         8
        .size:           8
        .value_kind:     global_buffer
      - .address_space:  global
        .offset:         16
        .size:           8
        .value_kind:     global_buffer
      - .offset:         24
        .size:           4
        .value_kind:     by_value
      - .offset:         32
        .size:           4
        .value_kind:     hidden_block_count_x
      - .offset:         36
        .size:           4
        .value_kind:     hidden_block_count_y
      - .offset:         40
        .size:           4
        .value_kind:     hidden_block_count_z
      - .offset:         44
        .size:           2
        .value_kind:     hidden_group_size_x
      - .offset:         46
        .size:           2
        .value_kind:     hidden_group_size_y
      - .offset:         48
        .size:           2
        .value_kind:     hidden_group_size_z
      - .offset:         50
        .size:           2
        .value_kind:     hidden_remainder_x
      - .offset:         52
        .size:           2
        .value_kind:     hidden_remainder_y
      - .offset:         54
        .size:           2
        .value_kind:     hidden_remainder_z
      - .offset:         72
        .size:           8
        .value_kind:     hidden_global_offset_x
      - .offset:         80
        .size:           8
        .value_kind:     hidden_global_offset_y
      - .offset:         88
        .size:           8
        .value_kind:     hidden_global_offset_z
      - .offset:         96
        .size:           2
        .value_kind:     hidden_grid_dims
      - .offset:         152
        .size:           4
        .value_kind:     hidden_dynamic_lds_size
    .group_segment_fixed_size: 0
    .kernarg_segment_align: 8
    .kernarg_segment_size: 288
    .language:       OpenCL C
    .language_version:
      - 2
      - 0
    .max_flat_workgroup_size: 256
    .name:           _ZL26flash_attn_combine_resultsILi256EEvPKfPK15HIP_vector_typeIfLj2EEPfi
    .private_segment_fixed_size: 0
    .sgpr_count:     18
    .sgpr_spill_count: 0
    .symbol:         _ZL26flash_attn_combine_resultsILi256EEvPKfPK15HIP_vector_typeIfLj2EEPfi.kd
    .uniform_work_group_size: 1
    .uses_dynamic_stack: false
    .vgpr_count:     55
    .vgpr_spill_count: 0
    .wavefront_size: 32
    .workgroup_processor_mode: 1
  - .args:
      - .address_space:  global
        .offset:         0
        .size:           8
        .value_kind:     global_buffer
      - .address_space:  global
        .offset:         8
        .size:           8
        .value_kind:     global_buffer
      - .address_space:  global
        .offset:         16
        .size:           8
        .value_kind:     global_buffer
      - .address_space:  global
        .offset:         24
        .size:           8
        .value_kind:     global_buffer
      - .address_space:  global
        .offset:         32
        .size:           8
        .value_kind:     global_buffer
      - .address_space:  global
        .offset:         40
        .size:           8
        .value_kind:     global_buffer
      - .address_space:  global
        .offset:         48
        .size:           8
        .value_kind:     global_buffer
      - .address_space:  global
        .offset:         56
        .size:           8
        .value_kind:     global_buffer
      - .offset:         64
        .size:           4
        .value_kind:     by_value
      - .offset:         68
        .size:           4
        .value_kind:     by_value
      - .offset:         72
        .size:           4
        .value_kind:     by_value
      - .offset:         76
        .size:           4
        .value_kind:     by_value
      - .offset:         80
        .size:           4
        .value_kind:     by_value
      - .offset:         84
        .size:           4
        .value_kind:     by_value
      - .offset:         88
        .size:           4
        .value_kind:     by_value
      - .offset:         92
        .size:           12
        .value_kind:     by_value
      - .offset:         104
        .size:           4
        .value_kind:     by_value
      - .offset:         108
        .size:           4
        .value_kind:     by_value
      - .offset:         112
        .size:           4
        .value_kind:     by_value
      - .offset:         116
        .size:           4
        .value_kind:     by_value
      - .offset:         120
        .size:           4
        .value_kind:     by_value
      - .offset:         124
        .size:           4
        .value_kind:     by_value
      - .offset:         128
        .size:           4
        .value_kind:     by_value
      - .offset:         132
        .size:           4
        .value_kind:     by_value
      - .offset:         136
        .size:           4
        .value_kind:     by_value
      - .offset:         140
        .size:           4
        .value_kind:     by_value
      - .offset:         144
        .size:           4
        .value_kind:     by_value
      - .offset:         152
        .size:           8
        .value_kind:     by_value
      - .offset:         160
        .size:           4
        .value_kind:     by_value
      - .offset:         164
        .size:           4
        .value_kind:     by_value
      - .offset:         168
        .size:           8
        .value_kind:     by_value
      - .offset:         176
        .size:           4
        .value_kind:     by_value
      - .offset:         180
        .size:           4
        .value_kind:     by_value
      - .offset:         184
        .size:           4
        .value_kind:     by_value
      - .offset:         188
        .size:           4
        .value_kind:     by_value
      - .offset:         192
        .size:           4
        .value_kind:     by_value
      - .offset:         200
        .size:           8
        .value_kind:     by_value
      - .offset:         208
        .size:           4
        .value_kind:     hidden_block_count_x
      - .offset:         212
        .size:           4
        .value_kind:     hidden_block_count_y
      - .offset:         216
        .size:           4
        .value_kind:     hidden_block_count_z
      - .offset:         220
        .size:           2
        .value_kind:     hidden_group_size_x
      - .offset:         222
        .size:           2
        .value_kind:     hidden_group_size_y
      - .offset:         224
        .size:           2
        .value_kind:     hidden_group_size_z
      - .offset:         226
        .size:           2
        .value_kind:     hidden_remainder_x
      - .offset:         228
        .size:           2
        .value_kind:     hidden_remainder_y
      - .offset:         230
        .size:           2
        .value_kind:     hidden_remainder_z
      - .offset:         248
        .size:           8
        .value_kind:     hidden_global_offset_x
      - .offset:         256
        .size:           8
        .value_kind:     hidden_global_offset_y
      - .offset:         264
        .size:           8
        .value_kind:     hidden_global_offset_z
      - .offset:         272
        .size:           2
        .value_kind:     hidden_grid_dims
    .group_segment_fixed_size: 47104
    .kernarg_segment_align: 8
    .kernarg_segment_size: 464
    .language:       OpenCL C
    .language_version:
      - 2
      - 0
    .max_flat_workgroup_size: 256
    .name:           _ZL15flash_attn_tileILi320ELi256ELi1ELi32ELb1EEvPKcS1_S1_S1_S1_PKiPfP15HIP_vector_typeIfLj2EEffffjfiS5_IjLj3EEiiiiiiiiiiiliiliiiiil
    .private_segment_fixed_size: 0
    .sgpr_count:     42
    .sgpr_spill_count: 0
    .symbol:         _ZL15flash_attn_tileILi320ELi256ELi1ELi32ELb1EEvPKcS1_S1_S1_S1_PKiPfP15HIP_vector_typeIfLj2EEffffjfiS5_IjLj3EEiiiiiiiiiiiliiliiiiil.kd
    .uniform_work_group_size: 1
    .uses_dynamic_stack: false
    .vgpr_count:     219
    .vgpr_spill_count: 0
    .wavefront_size: 32
    .workgroup_processor_mode: 1
amdhsa.target:   amdgcn-amd-amdhsa--gfx1100
amdhsa.version:
  - 1
  - 2
...

	.end_amdgpu_metadata
